;; amdgpu-corpus repo=ROCm/hip-tests kind=compiled arch=gfx950 opt=O3
	.amdgcn_target "amdgcn-amd-amdhsa--gfx950"
	.amdhsa_code_object_version 6
	.section	.text._ZL31kernel_cg_multi_grid_group_typePiS_S_S_S_S_S_,"axG",@progbits,_ZL31kernel_cg_multi_grid_group_typePiS_S_S_S_S_S_,comdat
	.globl	_ZL31kernel_cg_multi_grid_group_typePiS_S_S_S_S_S_ ; -- Begin function _ZL31kernel_cg_multi_grid_group_typePiS_S_S_S_S_S_
	.p2align	8
	.type	_ZL31kernel_cg_multi_grid_group_typePiS_S_S_S_S_S_,@function
_ZL31kernel_cg_multi_grid_group_typePiS_S_S_S_S_S_: ; @_ZL31kernel_cg_multi_grid_group_typePiS_S_S_S_S_S_
; %bb.0:
	s_load_dwordx8 s[16:23], s[0:1], 0x0
	s_load_dwordx2 s[28:29], s[0:1], 0x90
	s_load_dwordx8 s[8:15], s[0:1], 0x20
	s_load_dword s5, s[0:1], 0x44
	s_add_u32 s0, s0, 56
	s_addc_u32 s1, s1, 0
	s_waitcnt lgkmcnt(0)
	s_load_dwordx2 s[6:7], s[28:29], 0x8
	s_load_dwordx4 s[24:27], s[28:29], 0x10
	v_and_b32_e32 v1, 0x3ff, v0
	s_and_b32 s5, s5, 0xffff
	s_mul_i32 s14, s2, s5
	v_add_u32_e32 v4, s14, v1
	v_ashrrev_i32_e32 v5, 31, v4
	v_lshlrev_b64 v[2:3], 2, v[4:5]
	v_lshl_add_u64 v[6:7], s[12:13], 0, v[2:3]
	s_waitcnt lgkmcnt(0)
	v_mov_b32_e32 v5, s7
	global_store_dword v[6:7], v5, off
	v_lshl_add_u64 v[6:7], s[16:17], 0, v[2:3]
	v_mov_b32_e32 v5, s6
	global_store_dword v[6:7], v5, off
	v_lshl_add_u64 v[6:7], s[18:19], 0, v[2:3]
	v_mov_b32_e32 v5, s26
	global_store_dword v[6:7], v5, off
	s_load_dword s12, s[0:1], 0x40
	s_load_dword s18, s[0:1], 0x0
	s_waitcnt lgkmcnt(0)
	s_and_b32 s14, s12, 0xffff
	s_sext_i32_i16 s13, s14
	s_cmp_lt_i32 s13, 2
	s_cbranch_scc1 .LBB0_5
; %bb.1:
	s_sext_i32_i16 s12, s12
	s_cmp_lt_i32 s12, 3
	s_cbranch_scc1 .LBB0_6
; %bb.2:
	s_cmp_eq_u32 s14, 3
	v_mov_b64_e32 v[6:7], 0
	s_cbranch_scc0 .LBB0_4
; %bb.3:
	v_mov_b32_e32 v7, 0
	global_load_dword v6, v7, s[0:1] offset:14
	s_load_dword s12, s[0:1], 0x4
	v_bfe_u32 v8, v0, 10, 10
	v_bfe_u32 v9, v0, 20, 10
	s_mul_i32 s15, s18, s5
	v_mov_b32_e32 v5, v7
	s_waitcnt vmcnt(0)
	v_lshrrev_b32_e32 v10, 16, v6
	v_and_b32_e32 v6, 0xffff, v6
	s_waitcnt lgkmcnt(0)
	v_mul_lo_u32 v11, s12, v6
	v_mul_lo_u32 v6, s3, v6
	;; [unrolled: 1-line block ×3, first 2 shown]
	v_add_u32_e32 v6, v6, v8
	v_add_u32_e32 v8, v10, v9
	v_mad_u64_u32 v[6:7], s[12:13], v8, v11, v[6:7]
	v_mad_u64_u32 v[6:7], s[12:13], v6, s15, v[4:5]
.LBB0_4:
	s_cbranch_execz .LBB0_7
	s_branch .LBB0_8
.LBB0_5:
                                        ; implicit-def: $vgpr6_vgpr7
	s_branch .LBB0_9
.LBB0_6:
                                        ; implicit-def: $vgpr6_vgpr7
.LBB0_7:
	s_load_dwordx2 s[12:13], s[0:1], 0xc
	s_mul_i32 s0, s18, s5
	v_bfe_u32 v5, v0, 10, 10
	s_waitcnt lgkmcnt(0)
	s_lshr_b32 s1, s13, 16
	s_lshr_b32 s12, s12, 16
	s_add_i32 s0, s0, s1
	s_mul_i32 s1, s3, s12
	v_add_u32_e32 v6, s1, v5
	v_mov_b32_e32 v5, 0
	v_mad_u64_u32 v[6:7], s[0:1], v6, s0, v[4:5]
.LBB0_8:
	s_cbranch_execnz .LBB0_11
.LBB0_9:
	s_cmp_lg_u32 s14, 1
	v_mov_b64_e32 v[6:7], 0
	s_cbranch_scc1 .LBB0_11
; %bb.10:
	v_mov_b64_e32 v[6:7], v[4:5]
.LBB0_11:
	s_cmp_lg_u64 s[28:29], 0
	s_cselect_b64 s[0:1], -1, 0
	s_cmp_lg_u32 s7, 0
	s_cselect_b64 s[12:13], -1, 0
	v_add_u32_e32 v6, s24, v6
	v_lshl_add_u64 v[4:5], s[20:21], 0, v[2:3]
	s_and_b64 s[0:1], s[0:1], s[12:13]
	global_store_dword v[4:5], v6, off
	v_cndmask_b32_e64 v6, 0, 1, s[0:1]
	v_lshl_add_u64 v[4:5], s[22:23], 0, v[2:3]
	global_store_dword v[4:5], v6, off
	v_lshl_add_u64 v[2:3], s[8:9], 0, v[2:3]
	v_mov_b32_e32 v4, 1
	global_store_dword v[2:3], v4, off
	v_bfe_u32 v3, v0, 10, 10
	v_bfe_u32 v0, v0, 20, 10
	v_or3_b32 v2, v1, v3, v0
	v_cmp_eq_u32_e64 s[0:1], 0, v2
	s_barrier
	s_and_saveexec_b64 s[12:13], s[0:1]
	s_cbranch_execz .LBB0_21
; %bb.12:
	v_mov_b32_e32 v5, 0
	buffer_wbl2 sc1
	s_waitcnt vmcnt(0)
	global_load_dword v2, v5, s[28:29] offset:40
	s_mov_b64 s[14:15], exec
	v_mbcnt_lo_u32_b32 v4, s14, 0
	v_mbcnt_hi_u32_b32 v4, s15, v4
	v_cmp_eq_u32_e32 vcc, 0, v4
                                        ; implicit-def: $vgpr6
	s_and_saveexec_b64 s[16:17], vcc
	s_cbranch_execz .LBB0_14
; %bb.13:
	s_bcnt1_i32_b64 s14, s[14:15]
	v_mov_b32_e32 v6, s14
	global_atomic_add v6, v5, v6, s[28:29] offset:32 sc0
.LBB0_14:
	s_or_b64 exec, exec, s[16:17]
	s_waitcnt vmcnt(0)
	v_readfirstlane_b32 s14, v6
	v_add_u32_e32 v5, -1, v2
	s_nop 0
	v_add_u32_e32 v4, s14, v4
	v_cmp_eq_u32_sdwa s[16:17], v4, v5 src0_sel:WORD_0 src1_sel:DWORD
	s_and_saveexec_b64 s[14:15], s[16:17]
	s_cbranch_execz .LBB0_17
; %bb.15:
	s_mov_b64 s[16:17], exec
	v_mbcnt_lo_u32_b32 v5, s16, 0
	v_mbcnt_hi_u32_b32 v5, s17, v5
	v_cmp_eq_u32_e32 vcc, 0, v5
	s_and_b64 s[20:21], exec, vcc
	s_mov_b64 exec, s[20:21]
	s_cbranch_execz .LBB0_17
; %bb.16:
	v_sub_u32_e32 v2, 0x10000, v2
	s_bcnt1_i32_b64 s16, s[16:17]
	v_mul_lo_u32 v2, v2, s16
	v_mov_b32_e32 v5, 0
	global_atomic_add v5, v2, s[28:29] offset:32
.LBB0_17:
	s_or_b64 exec, exec, s[14:15]
	v_mov_b32_e32 v2, 0
	global_load_dword v5, v2, s[28:29] offset:32 sc1
	v_and_b32_e32 v4, 0xffff0000, v4
	s_waitcnt vmcnt(0)
	v_and_b32_e32 v5, 0xffff0000, v5
	v_cmp_eq_u32_e32 vcc, v5, v4
	s_and_b64 exec, exec, vcc
	s_cbranch_execz .LBB0_20
; %bb.18:
	s_mov_b64 s[14:15], 0
.LBB0_19:                               ; =>This Inner Loop Header: Depth=1
	s_sleep 1
	global_load_dword v5, v2, s[28:29] offset:32 sc1
	s_waitcnt vmcnt(0)
	v_and_b32_e32 v5, 0xffff0000, v5
	v_cmp_ne_u32_e32 vcc, v5, v4
	s_or_b64 s[14:15], vcc, s[14:15]
	s_andn2_b64 exec, exec, s[14:15]
	s_cbranch_execnz .LBB0_19
.LBB0_20:
	buffer_inv sc1
.LBB0_21:
	s_or_b64 exec, exec, s[12:13]
	v_or_b32_e32 v2, s2, v1
	v_cmp_eq_u32_e32 vcc, 0, v2
	s_barrier
	s_and_saveexec_b64 s[12:13], vcc
	s_cbranch_execz .LBB0_32
; %bb.22:
	v_mov_b32_e32 v4, 0
	global_load_dword v4, v4, s[8:9]
	s_mul_i32 s5, s18, s5
	s_cmp_lt_u32 s5, 2
	s_cbranch_scc1 .LBB0_31
; %bb.23:
	s_cmp_lt_u32 s5, 5
	s_cbranch_scc1 .LBB0_27
; %bb.24:
	s_add_i32 s16, s5, -1
	s_and_b32 s17, s16, -4
	s_add_u32 s14, s8, 12
	s_addc_u32 s15, s9, 0
	v_mov_b32_e32 v7, 0
	v_mov_b32_e32 v6, 0
	;; [unrolled: 1-line block ×3, first 2 shown]
	s_mov_b32 s18, s17
	v_mov_b32_e32 v8, 0
.LBB0_25:                               ; =>This Inner Loop Header: Depth=1
	global_load_dwordx4 v[10:13], v7, s[14:15] offset:-8
	s_add_u32 s14, s14, 16
	s_addc_u32 s15, s15, 0
	s_add_i32 s18, s18, -4
	s_cmp_lg_u32 s18, 0
	s_waitcnt vmcnt(0)
	v_add_u32_e32 v8, v8, v11
	v_add_u32_e32 v4, v4, v10
	;; [unrolled: 1-line block ×4, first 2 shown]
	s_cbranch_scc1 .LBB0_25
; %bb.26:
	s_or_b32 s14, s17, 1
	v_add_u32_e32 v6, v6, v8
	v_add_u32_e32 v4, v5, v4
	s_cmp_lg_u32 s16, s17
	v_add_u32_e32 v4, v4, v6
	s_cselect_b64 s[16:17], -1, 0
	s_and_b64 vcc, exec, s[16:17]
	s_cbranch_vccnz .LBB0_28
	s_branch .LBB0_30
.LBB0_27:
	s_mov_b32 s14, 1
	s_cbranch_execz .LBB0_30
.LBB0_28:
	s_mov_b32 s15, 0
	s_sub_i32 s5, s5, s14
	s_lshl_b64 s[14:15], s[14:15], 2
	s_add_u32 s14, s8, s14
	s_addc_u32 s15, s9, s15
	v_mov_b32_e32 v5, 0
.LBB0_29:                               ; =>This Inner Loop Header: Depth=1
	global_load_dword v6, v5, s[14:15]
	s_add_i32 s5, s5, -1
	s_add_u32 s14, s14, 4
	s_addc_u32 s15, s15, 0
	s_cmp_eq_u32 s5, 0
	s_waitcnt vmcnt(0)
	v_add_u32_e32 v4, v4, v6
	s_cbranch_scc0 .LBB0_29
.LBB0_30:
	v_mov_b32_e32 v5, 0
	s_waitcnt vmcnt(0)
	global_store_dword v5, v4, s[8:9]
.LBB0_31:
	s_add_i32 s8, s6, 1
	s_mov_b32 s9, 0
	s_lshl_b64 s[8:9], s[8:9], 2
	s_add_u32 s8, s10, s8
	s_addc_u32 s9, s11, s9
	v_mov_b32_e32 v5, 0
	s_waitcnt vmcnt(0)
	global_store_dword v5, v4, s[8:9]
.LBB0_32:
	s_or_b64 exec, exec, s[12:13]
	v_mov_b32_e32 v4, 0
	buffer_wbl2 sc0 sc1
	s_waitcnt vmcnt(0)
	buffer_inv sc0 sc1
	s_barrier
	global_load_dword v4, v4, s[28:29] offset:40
	s_waitcnt vmcnt(0)
	v_readfirstlane_b32 s16, v4
	s_and_saveexec_b64 s[8:9], s[0:1]
	s_cbranch_execz .LBB0_41
; %bb.33:
	s_mov_b64 s[14:15], exec
	v_mbcnt_lo_u32_b32 v4, s14, 0
	v_mbcnt_hi_u32_b32 v4, s15, v4
	v_cmp_eq_u32_e32 vcc, 0, v4
                                        ; implicit-def: $vgpr5
	s_and_saveexec_b64 s[12:13], vcc
	s_cbranch_execz .LBB0_35
; %bb.34:
	s_bcnt1_i32_b64 s5, s[14:15]
	v_mov_b32_e32 v5, 0
	v_mov_b32_e32 v6, s5
	global_atomic_add v5, v5, v6, s[28:29] offset:32 sc0
.LBB0_35:
	s_or_b64 exec, exec, s[12:13]
	s_waitcnt vmcnt(0)
	v_readfirstlane_b32 s5, v5
	s_nop 1
	v_add_u32_e32 v4, s5, v4
	s_add_i32 s5, s16, -1
	v_cmp_eq_u32_sdwa s[14:15], v4, s5 src0_sel:WORD_0 src1_sel:DWORD
	s_and_saveexec_b64 s[12:13], s[14:15]
	s_cbranch_execz .LBB0_38
; %bb.36:
	s_mov_b64 s[14:15], exec
	v_mbcnt_lo_u32_b32 v5, s14, 0
	v_mbcnt_hi_u32_b32 v5, s15, v5
	v_cmp_eq_u32_e32 vcc, 0, v5
	s_and_b64 s[18:19], exec, vcc
	s_mov_b64 exec, s[18:19]
	s_cbranch_execz .LBB0_38
; %bb.37:
	s_sub_i32 s5, 0x10000, s16
	s_bcnt1_i32_b64 s14, s[14:15]
	s_mul_i32 s5, s5, s14
	v_mov_b32_e32 v5, 0
	v_mov_b32_e32 v6, s5
	global_atomic_add v5, v6, s[28:29] offset:32
.LBB0_38:
	s_or_b64 exec, exec, s[12:13]
	v_mov_b32_e32 v5, 0
	global_load_dword v6, v5, s[28:29] offset:32 sc1
	v_and_b32_e32 v4, 0xffff0000, v4
	s_waitcnt vmcnt(0)
	v_and_b32_e32 v6, 0xffff0000, v6
	v_cmp_eq_u32_e32 vcc, v6, v4
	s_and_b64 exec, exec, vcc
	s_cbranch_execz .LBB0_41
; %bb.39:
	s_mov_b64 s[12:13], 0
.LBB0_40:                               ; =>This Inner Loop Header: Depth=1
	s_sleep 1
	global_load_dword v6, v5, s[28:29] offset:32 sc1
	s_waitcnt vmcnt(0)
	v_and_b32_e32 v6, 0xffff0000, v6
	v_cmp_ne_u32_e32 vcc, v6, v4
	s_or_b64 s[12:13], vcc, s[12:13]
	s_andn2_b64 exec, exec, s[12:13]
	s_cbranch_execnz .LBB0_40
.LBB0_41:
	s_or_b64 exec, exec, s[8:9]
	s_or_b32 s3, s3, s4
	s_or_b32 s2, s3, s2
	v_or_b32_e32 v1, s2, v1
	v_or3_b32 v0, v1, v3, v0
	v_cmp_eq_u32_e32 vcc, 0, v0
	s_and_saveexec_b64 s[2:3], vcc
	s_cbranch_execz .LBB0_51
; %bb.42:
	v_mov_b32_e32 v4, 0
	global_load_dwordx2 v[0:1], v4, s[28:29]
	global_load_dword v3, v4, s[28:29] offset:12
	s_mov_b64 s[4:5], exec
	v_mbcnt_lo_u32_b32 v4, s4, 0
	v_mbcnt_hi_u32_b32 v4, s5, v4
	v_cmp_eq_u32_e32 vcc, 0, v4
                                        ; implicit-def: $vgpr5
	s_and_saveexec_b64 s[8:9], vcc
	s_cbranch_execz .LBB0_44
; %bb.43:
	s_bcnt1_i32_b64 s4, s[4:5]
	v_mov_b32_e32 v5, s4
	s_waitcnt vmcnt(1)
	global_atomic_add v5, v[0:1], v5, off sc0 sc1
.LBB0_44:
	s_or_b64 exec, exec, s[8:9]
	s_waitcnt vmcnt(0)
	v_readfirstlane_b32 s4, v5
	v_add_u32_e32 v5, -1, v3
	s_movk_i32 s12, 0xff
	v_add_u32_e32 v4, s4, v4
	v_cmp_ne_u32_sdwa s[4:5], v4, v5 src0_sel:BYTE_0 src1_sel:DWORD
	s_and_saveexec_b64 s[8:9], s[4:5]
	s_xor_b64 s[4:5], exec, s[8:9]
	s_cbranch_execz .LBB0_48
; %bb.45:
	s_mov_b64 s[8:9], 0
.LBB0_46:                               ; =>This Inner Loop Header: Depth=1
	s_sleep 2
	global_load_dword v3, v[0:1], off sc0 sc1
	s_waitcnt vmcnt(0)
	v_xor_b32_e32 v3, v3, v4
	v_cmp_lt_u32_e32 vcc, s12, v3
	s_or_b64 s[8:9], vcc, s[8:9]
	s_andn2_b64 exec, exec, s[8:9]
	s_cbranch_execnz .LBB0_46
; %bb.47:
	s_or_b64 exec, exec, s[8:9]
                                        ; implicit-def: $vgpr3
                                        ; implicit-def: $vgpr0_vgpr1
.LBB0_48:
	s_andn2_saveexec_b64 s[4:5], s[4:5]
	s_cbranch_execz .LBB0_51
; %bb.49:
	s_mov_b64 s[4:5], exec
	v_mbcnt_lo_u32_b32 v4, s4, 0
	v_mbcnt_hi_u32_b32 v4, s5, v4
	v_cmp_eq_u32_e32 vcc, 0, v4
	s_and_b64 s[8:9], exec, vcc
	s_mov_b64 exec, s[8:9]
	s_cbranch_execz .LBB0_51
; %bb.50:
	v_sub_u32_e32 v3, 0x100, v3
	s_bcnt1_i32_b64 s4, s[4:5]
	v_mul_lo_u32 v3, v3, s4
	global_atomic_add v[0:1], v3, off sc1
.LBB0_51:
	s_or_b64 exec, exec, s[2:3]
	s_and_saveexec_b64 s[2:3], s[0:1]
	s_cbranch_execz .LBB0_60
; %bb.52:
	s_mov_b64 s[4:5], exec
	v_mbcnt_lo_u32_b32 v0, s4, 0
	v_mbcnt_hi_u32_b32 v0, s5, v0
	v_cmp_eq_u32_e32 vcc, 0, v0
                                        ; implicit-def: $vgpr1
	s_and_saveexec_b64 s[0:1], vcc
	s_cbranch_execz .LBB0_54
; %bb.53:
	s_bcnt1_i32_b64 s4, s[4:5]
	v_mov_b32_e32 v1, 0
	v_mov_b32_e32 v3, s4
	global_atomic_add v1, v1, v3, s[28:29] offset:32 sc0
.LBB0_54:
	s_or_b64 exec, exec, s[0:1]
	s_waitcnt vmcnt(0)
	v_readfirstlane_b32 s0, v1
	s_nop 1
	v_add_u32_e32 v0, s0, v0
	s_add_i32 s0, s16, -1
	v_cmp_eq_u32_sdwa s[4:5], v0, s0 src0_sel:WORD_0 src1_sel:DWORD
	s_and_saveexec_b64 s[0:1], s[4:5]
	s_cbranch_execz .LBB0_57
; %bb.55:
	s_mov_b64 s[4:5], exec
	v_mbcnt_lo_u32_b32 v1, s4, 0
	v_mbcnt_hi_u32_b32 v1, s5, v1
	v_cmp_eq_u32_e32 vcc, 0, v1
	s_and_b64 s[8:9], exec, vcc
	s_mov_b64 exec, s[8:9]
	s_cbranch_execz .LBB0_57
; %bb.56:
	s_sub_i32 s8, 0x10000, s16
	s_bcnt1_i32_b64 s4, s[4:5]
	s_mul_i32 s4, s8, s4
	v_mov_b32_e32 v1, 0
	v_mov_b32_e32 v3, s4
	global_atomic_add v1, v3, s[28:29] offset:32
.LBB0_57:
	s_or_b64 exec, exec, s[0:1]
	v_mov_b32_e32 v1, 0
	global_load_dword v3, v1, s[28:29] offset:32 sc1
	v_and_b32_e32 v0, 0xffff0000, v0
	s_waitcnt vmcnt(0)
	v_and_b32_e32 v3, 0xffff0000, v3
	v_cmp_eq_u32_e32 vcc, v3, v0
	s_and_b64 exec, exec, vcc
	s_cbranch_execz .LBB0_60
; %bb.58:
	s_mov_b64 s[0:1], 0
.LBB0_59:                               ; =>This Inner Loop Header: Depth=1
	s_sleep 1
	global_load_dword v3, v1, s[28:29] offset:32 sc1
	s_waitcnt vmcnt(0)
	v_and_b32_e32 v3, 0xffff0000, v3
	v_cmp_ne_u32_e32 vcc, v3, v0
	s_or_b64 s[0:1], vcc, s[0:1]
	s_andn2_b64 exec, exec, s[0:1]
	s_cbranch_execnz .LBB0_59
.LBB0_60:
	s_or_b64 exec, exec, s[2:3]
	v_or_b32_e32 v0, s6, v2
	v_cmp_eq_u32_e32 vcc, 0, v0
	s_barrier
	s_and_saveexec_b64 s[0:1], vcc
	s_cbranch_execz .LBB0_70
; %bb.61:
	v_mov_b32_e32 v0, 0
	s_cmp_eq_u32 s7, 0
	global_store_dword v0, v0, s[10:11]
	s_cbranch_scc1 .LBB0_70
; %bb.62:
	s_add_i32 s0, s7, 1
	s_max_u32 s4, s0, 2
	s_cmp_lt_u32 s0, 5
	s_mov_b32 s0, 1
	s_cbranch_scc1 .LBB0_66
; %bb.63:
	s_add_i32 s2, s4, -1
	s_and_b32 s3, s2, -4
	s_add_u32 s0, s10, 12
	s_addc_u32 s1, s11, 0
	v_mov_b32_e32 v3, 0
	v_mov_b32_e32 v0, 0
	;; [unrolled: 1-line block ×4, first 2 shown]
	s_mov_b32 s5, s3
	v_mov_b32_e32 v4, 0
.LBB0_64:                               ; =>This Inner Loop Header: Depth=1
	global_load_dwordx4 v[6:9], v3, s[0:1] offset:-8
	s_add_u32 s0, s0, 16
	s_addc_u32 s1, s1, 0
	s_add_i32 s5, s5, -4
	s_cmp_lg_u32 s5, 0
	s_waitcnt vmcnt(0)
	v_add_u32_e32 v4, v4, v7
	v_add_u32_e32 v0, v0, v6
	;; [unrolled: 1-line block ×4, first 2 shown]
	s_cbranch_scc1 .LBB0_64
; %bb.65:
	s_or_b32 s0, s3, 1
	v_add_u32_e32 v2, v2, v4
	v_add_u32_e32 v0, v1, v0
	s_cmp_lg_u32 s2, s3
	v_add_u32_e32 v0, v0, v2
	s_cselect_b64 s[2:3], -1, 0
	s_and_b64 vcc, exec, s[2:3]
	s_cbranch_vccnz .LBB0_67
	s_branch .LBB0_69
.LBB0_66:
	s_cbranch_execz .LBB0_69
.LBB0_67:
	s_mov_b32 s1, 0
	s_sub_i32 s2, s4, s0
	s_lshl_b64 s[0:1], s[0:1], 2
	s_add_u32 s0, s10, s0
	s_addc_u32 s1, s11, s1
	v_mov_b32_e32 v1, 0
.LBB0_68:                               ; =>This Inner Loop Header: Depth=1
	global_load_dword v2, v1, s[0:1]
	s_add_i32 s2, s2, -1
	s_add_u32 s0, s0, 4
	s_addc_u32 s1, s1, 0
	s_cmp_lg_u32 s2, 0
	s_waitcnt vmcnt(0)
	v_add_u32_e32 v0, v0, v2
	s_cbranch_scc1 .LBB0_68
.LBB0_69:
	v_mov_b32_e32 v1, 0
	global_store_dword v1, v0, s[10:11]
.LBB0_70:
	s_endpgm
	.section	.rodata,"a",@progbits
	.p2align	6, 0x0
	.amdhsa_kernel _ZL31kernel_cg_multi_grid_group_typePiS_S_S_S_S_S_
		.amdhsa_group_segment_fixed_size 0
		.amdhsa_private_segment_fixed_size 0
		.amdhsa_kernarg_size 312
		.amdhsa_user_sgpr_count 2
		.amdhsa_user_sgpr_dispatch_ptr 0
		.amdhsa_user_sgpr_queue_ptr 0
		.amdhsa_user_sgpr_kernarg_segment_ptr 1
		.amdhsa_user_sgpr_dispatch_id 0
		.amdhsa_user_sgpr_kernarg_preload_length 0
		.amdhsa_user_sgpr_kernarg_preload_offset 0
		.amdhsa_user_sgpr_private_segment_size 0
		.amdhsa_uses_dynamic_stack 0
		.amdhsa_enable_private_segment 0
		.amdhsa_system_sgpr_workgroup_id_x 1
		.amdhsa_system_sgpr_workgroup_id_y 1
		.amdhsa_system_sgpr_workgroup_id_z 1
		.amdhsa_system_sgpr_workgroup_info 0
		.amdhsa_system_vgpr_workitem_id 2
		.amdhsa_next_free_vgpr 14
		.amdhsa_next_free_sgpr 30
		.amdhsa_accum_offset 16
		.amdhsa_reserve_vcc 1
		.amdhsa_float_round_mode_32 0
		.amdhsa_float_round_mode_16_64 0
		.amdhsa_float_denorm_mode_32 3
		.amdhsa_float_denorm_mode_16_64 3
		.amdhsa_dx10_clamp 1
		.amdhsa_ieee_mode 1
		.amdhsa_fp16_overflow 0
		.amdhsa_tg_split 0
		.amdhsa_exception_fp_ieee_invalid_op 0
		.amdhsa_exception_fp_denorm_src 0
		.amdhsa_exception_fp_ieee_div_zero 0
		.amdhsa_exception_fp_ieee_overflow 0
		.amdhsa_exception_fp_ieee_underflow 0
		.amdhsa_exception_fp_ieee_inexact 0
		.amdhsa_exception_int_div_zero 0
	.end_amdhsa_kernel
	.section	.text._ZL31kernel_cg_multi_grid_group_typePiS_S_S_S_S_S_,"axG",@progbits,_ZL31kernel_cg_multi_grid_group_typePiS_S_S_S_S_S_,comdat
.Lfunc_end0:
	.size	_ZL31kernel_cg_multi_grid_group_typePiS_S_S_S_S_S_, .Lfunc_end0-_ZL31kernel_cg_multi_grid_group_typePiS_S_S_S_S_S_
                                        ; -- End function
	.set _ZL31kernel_cg_multi_grid_group_typePiS_S_S_S_S_S_.num_vgpr, 14
	.set _ZL31kernel_cg_multi_grid_group_typePiS_S_S_S_S_S_.num_agpr, 0
	.set _ZL31kernel_cg_multi_grid_group_typePiS_S_S_S_S_S_.numbered_sgpr, 30
	.set _ZL31kernel_cg_multi_grid_group_typePiS_S_S_S_S_S_.num_named_barrier, 0
	.set _ZL31kernel_cg_multi_grid_group_typePiS_S_S_S_S_S_.private_seg_size, 0
	.set _ZL31kernel_cg_multi_grid_group_typePiS_S_S_S_S_S_.uses_vcc, 1
	.set _ZL31kernel_cg_multi_grid_group_typePiS_S_S_S_S_S_.uses_flat_scratch, 0
	.set _ZL31kernel_cg_multi_grid_group_typePiS_S_S_S_S_S_.has_dyn_sized_stack, 0
	.set _ZL31kernel_cg_multi_grid_group_typePiS_S_S_S_S_S_.has_recursion, 0
	.set _ZL31kernel_cg_multi_grid_group_typePiS_S_S_S_S_S_.has_indirect_call, 0
	.section	.AMDGPU.csdata,"",@progbits
; Kernel info:
; codeLenInByte = 2236
; TotalNumSgprs: 36
; NumVgprs: 14
; NumAgprs: 0
; TotalNumVgprs: 14
; ScratchSize: 0
; MemoryBound: 0
; FloatMode: 240
; IeeeMode: 1
; LDSByteSize: 0 bytes/workgroup (compile time only)
; SGPRBlocks: 4
; VGPRBlocks: 1
; NumSGPRsForWavesPerEU: 36
; NumVGPRsForWavesPerEU: 14
; AccumOffset: 16
; Occupancy: 8
; WaveLimiterHint : 1
; COMPUTE_PGM_RSRC2:SCRATCH_EN: 0
; COMPUTE_PGM_RSRC2:USER_SGPR: 2
; COMPUTE_PGM_RSRC2:TRAP_HANDLER: 0
; COMPUTE_PGM_RSRC2:TGID_X_EN: 1
; COMPUTE_PGM_RSRC2:TGID_Y_EN: 1
; COMPUTE_PGM_RSRC2:TGID_Z_EN: 1
; COMPUTE_PGM_RSRC2:TIDIG_COMP_CNT: 2
; COMPUTE_PGM_RSRC3_GFX90A:ACCUM_OFFSET: 3
; COMPUTE_PGM_RSRC3_GFX90A:TG_SPLIT: 0
	.section	.text._ZL45kernel_cg_multi_grid_group_type_via_base_typePiS_S_S_S_S_,"axG",@progbits,_ZL45kernel_cg_multi_grid_group_type_via_base_typePiS_S_S_S_S_,comdat
	.globl	_ZL45kernel_cg_multi_grid_group_type_via_base_typePiS_S_S_S_S_ ; -- Begin function _ZL45kernel_cg_multi_grid_group_type_via_base_typePiS_S_S_S_S_
	.p2align	8
	.type	_ZL45kernel_cg_multi_grid_group_type_via_base_typePiS_S_S_S_S_,@function
_ZL45kernel_cg_multi_grid_group_type_via_base_typePiS_S_S_S_S_: ; @_ZL45kernel_cg_multi_grid_group_type_via_base_typePiS_S_S_S_S_
; %bb.0:
	s_load_dwordx8 s[8:15], s[0:1], 0x0
	s_load_dwordx2 s[6:7], s[0:1], 0x88
	s_load_dwordx4 s[16:19], s[0:1], 0x20
	s_load_dword s5, s[0:1], 0x3c
	s_add_u32 s0, s0, 48
	s_addc_u32 s1, s1, 0
	s_waitcnt lgkmcnt(0)
	s_load_dword s24, s[6:7], 0x8
	s_load_dwordx4 s[20:23], s[6:7], 0x10
	v_and_b32_e32 v1, 0x3ff, v0
	s_and_b32 s5, s5, 0xffff
	s_waitcnt lgkmcnt(0)
	s_mul_i32 s21, s2, s5
	v_add_u32_e32 v4, s21, v1
	v_ashrrev_i32_e32 v5, 31, v4
	v_lshlrev_b64 v[2:3], 2, v[4:5]
	v_lshl_add_u64 v[6:7], s[10:11], 0, v[2:3]
	v_mov_b32_e32 v8, s22
	global_store_dword v[6:7], v8, off
	v_lshl_add_u64 v[6:7], s[8:9], 0, v[2:3]
	v_mov_b32_e32 v8, s24
	global_store_dword v[6:7], v8, off
	s_load_dword s8, s[0:1], 0x40
	s_load_dword s21, s[0:1], 0x0
	s_waitcnt lgkmcnt(0)
	s_and_b32 s10, s8, 0xffff
	s_sext_i32_i16 s9, s10
	s_cmp_lt_i32 s9, 2
	s_cbranch_scc1 .LBB1_5
; %bb.1:
	s_sext_i32_i16 s8, s8
	s_cmp_lt_i32 s8, 3
	s_cbranch_scc1 .LBB1_6
; %bb.2:
	s_cmp_eq_u32 s10, 3
	v_mov_b64_e32 v[6:7], 0
	s_cbranch_scc0 .LBB1_4
; %bb.3:
	v_mov_b32_e32 v7, 0
	global_load_dword v6, v7, s[0:1] offset:14
	s_load_dword s8, s[0:1], 0x4
	v_bfe_u32 v8, v0, 10, 10
	v_bfe_u32 v9, v0, 20, 10
	s_mul_i32 s11, s21, s5
	s_waitcnt vmcnt(0)
	v_lshrrev_b32_e32 v10, 16, v6
	v_and_b32_e32 v6, 0xffff, v6
	s_waitcnt lgkmcnt(0)
	v_mul_lo_u32 v11, s8, v6
	v_mul_lo_u32 v6, s3, v6
	;; [unrolled: 1-line block ×3, first 2 shown]
	v_add_u32_e32 v6, v6, v8
	v_add_u32_e32 v8, v10, v9
	v_mad_u64_u32 v[8:9], s[8:9], v8, v11, v[6:7]
	v_mov_b32_e32 v6, v4
	v_mad_u64_u32 v[6:7], s[8:9], v8, s11, v[6:7]
.LBB1_4:
	s_cbranch_execz .LBB1_7
	s_branch .LBB1_8
.LBB1_5:
                                        ; implicit-def: $vgpr6_vgpr7
	s_branch .LBB1_9
.LBB1_6:
                                        ; implicit-def: $vgpr6_vgpr7
.LBB1_7:
	s_load_dwordx2 s[8:9], s[0:1], 0xc
	s_mul_i32 s0, s21, s5
	v_bfe_u32 v6, v0, 10, 10
	v_mov_b32_e32 v7, 0
	s_waitcnt lgkmcnt(0)
	s_lshr_b32 s1, s9, 16
	s_lshr_b32 s8, s8, 16
	s_add_i32 s0, s0, s1
	s_mul_i32 s1, s3, s8
	v_add_u32_e32 v8, s1, v6
	v_mov_b32_e32 v6, v4
	v_mad_u64_u32 v[6:7], s[0:1], v8, s0, v[6:7]
.LBB1_8:
	s_cbranch_execnz .LBB1_11
.LBB1_9:
	s_cmp_lg_u32 s10, 1
	v_mov_b64_e32 v[6:7], 0
	s_cbranch_scc1 .LBB1_11
; %bb.10:
	v_mov_b64_e32 v[6:7], v[4:5]
.LBB1_11:
	v_mov_b32_e32 v8, s12
	v_mov_b32_e32 v9, s13
	v_add_u32_e32 v6, s20, v6
	v_lshl_add_u64 v[4:5], v[4:5], 2, v[8:9]
	s_cmp_eq_u64 s[6:7], 0
	global_store_dword v[4:5], v6, off
	s_cbranch_scc1 .LBB1_13
; %bb.12:
	s_load_dword s0, s[6:7], 0xc
	s_waitcnt lgkmcnt(0)
	s_cmp_lg_u32 s0, 0
	s_cselect_b64 s[0:1], -1, 0
	v_cndmask_b32_e64 v4, 0, 1, s[0:1]
	s_branch .LBB1_14
.LBB1_13:
	v_mov_b32_e32 v4, 0
.LBB1_14:
	v_lshl_add_u64 v[6:7], s[14:15], 0, v[2:3]
	global_store_dword v[6:7], v4, off
	v_lshl_add_u64 v[2:3], s[16:17], 0, v[2:3]
	v_mov_b32_e32 v4, 1
	global_store_dword v[2:3], v4, off
	v_bfe_u32 v3, v0, 10, 10
	v_bfe_u32 v0, v0, 20, 10
	v_or3_b32 v2, v1, v3, v0
	v_cmp_eq_u32_e64 s[0:1], 0, v2
	s_barrier
	s_and_saveexec_b64 s[8:9], s[0:1]
	s_cbranch_execz .LBB1_24
; %bb.15:
	v_mov_b32_e32 v5, 0
	buffer_wbl2 sc1
	s_waitcnt vmcnt(0)
	global_load_dword v2, v5, s[6:7] offset:40
	s_mov_b64 s[10:11], exec
	v_mbcnt_lo_u32_b32 v4, s10, 0
	v_mbcnt_hi_u32_b32 v4, s11, v4
	v_cmp_eq_u32_e32 vcc, 0, v4
                                        ; implicit-def: $vgpr6
	s_and_saveexec_b64 s[12:13], vcc
	s_cbranch_execz .LBB1_17
; %bb.16:
	s_bcnt1_i32_b64 s10, s[10:11]
	v_mov_b32_e32 v6, s10
	global_atomic_add v6, v5, v6, s[6:7] offset:32 sc0
.LBB1_17:
	s_or_b64 exec, exec, s[12:13]
	s_waitcnt vmcnt(0)
	v_readfirstlane_b32 s10, v6
	v_add_u32_e32 v5, -1, v2
	s_nop 0
	v_add_u32_e32 v4, s10, v4
	v_cmp_eq_u32_sdwa s[12:13], v4, v5 src0_sel:WORD_0 src1_sel:DWORD
	s_and_saveexec_b64 s[10:11], s[12:13]
	s_cbranch_execz .LBB1_20
; %bb.18:
	s_mov_b64 s[12:13], exec
	v_mbcnt_lo_u32_b32 v5, s12, 0
	v_mbcnt_hi_u32_b32 v5, s13, v5
	v_cmp_eq_u32_e32 vcc, 0, v5
	s_and_b64 s[14:15], exec, vcc
	s_mov_b64 exec, s[14:15]
	s_cbranch_execz .LBB1_20
; %bb.19:
	v_sub_u32_e32 v2, 0x10000, v2
	s_bcnt1_i32_b64 s12, s[12:13]
	v_mul_lo_u32 v2, v2, s12
	v_mov_b32_e32 v5, 0
	global_atomic_add v5, v2, s[6:7] offset:32
.LBB1_20:
	s_or_b64 exec, exec, s[10:11]
	v_mov_b32_e32 v2, 0
	global_load_dword v5, v2, s[6:7] offset:32 sc1
	v_and_b32_e32 v4, 0xffff0000, v4
	s_waitcnt vmcnt(0)
	v_and_b32_e32 v5, 0xffff0000, v5
	v_cmp_eq_u32_e32 vcc, v5, v4
	s_and_b64 exec, exec, vcc
	s_cbranch_execz .LBB1_23
; %bb.21:
	s_mov_b64 s[10:11], 0
.LBB1_22:                               ; =>This Inner Loop Header: Depth=1
	s_sleep 1
	global_load_dword v5, v2, s[6:7] offset:32 sc1
	s_waitcnt vmcnt(0)
	v_and_b32_e32 v5, 0xffff0000, v5
	v_cmp_ne_u32_e32 vcc, v5, v4
	s_or_b64 s[10:11], vcc, s[10:11]
	s_andn2_b64 exec, exec, s[10:11]
	s_cbranch_execnz .LBB1_22
.LBB1_23:
	buffer_inv sc1
.LBB1_24:
	s_or_b64 exec, exec, s[8:9]
	v_or_b32_e32 v2, s2, v1
	v_cmp_eq_u32_e32 vcc, 0, v2
	s_barrier
	s_and_saveexec_b64 s[8:9], vcc
	s_cbranch_execz .LBB1_35
; %bb.25:
	v_mov_b32_e32 v4, 0
	global_load_dword v4, v4, s[16:17]
	s_mul_i32 s5, s21, s5
	s_cmp_lt_u32 s5, 2
	s_cbranch_scc1 .LBB1_34
; %bb.26:
	s_cmp_lt_u32 s5, 5
	s_cbranch_scc1 .LBB1_30
; %bb.27:
	s_add_i32 s12, s5, -1
	s_and_b32 s13, s12, -4
	s_add_u32 s10, s16, 12
	s_addc_u32 s11, s17, 0
	v_mov_b32_e32 v7, 0
	v_mov_b32_e32 v6, 0
	;; [unrolled: 1-line block ×3, first 2 shown]
	s_mov_b32 s14, s13
	v_mov_b32_e32 v8, 0
.LBB1_28:                               ; =>This Inner Loop Header: Depth=1
	global_load_dwordx4 v[10:13], v7, s[10:11] offset:-8
	s_add_u32 s10, s10, 16
	s_addc_u32 s11, s11, 0
	s_add_i32 s14, s14, -4
	s_cmp_lg_u32 s14, 0
	s_waitcnt vmcnt(0)
	v_add_u32_e32 v8, v8, v11
	v_add_u32_e32 v4, v4, v10
	;; [unrolled: 1-line block ×4, first 2 shown]
	s_cbranch_scc1 .LBB1_28
; %bb.29:
	s_or_b32 s10, s13, 1
	v_add_u32_e32 v6, v6, v8
	v_add_u32_e32 v4, v5, v4
	s_cmp_lg_u32 s12, s13
	v_add_u32_e32 v4, v4, v6
	s_cselect_b64 s[12:13], -1, 0
	s_and_b64 vcc, exec, s[12:13]
	s_cbranch_vccnz .LBB1_31
	s_branch .LBB1_33
.LBB1_30:
	s_mov_b32 s10, 1
	s_cbranch_execz .LBB1_33
.LBB1_31:
	s_mov_b32 s11, 0
	s_sub_i32 s5, s5, s10
	s_lshl_b64 s[10:11], s[10:11], 2
	s_add_u32 s10, s16, s10
	s_addc_u32 s11, s17, s11
	v_mov_b32_e32 v5, 0
.LBB1_32:                               ; =>This Inner Loop Header: Depth=1
	global_load_dword v6, v5, s[10:11]
	s_add_i32 s5, s5, -1
	s_add_u32 s10, s10, 4
	s_addc_u32 s11, s11, 0
	s_cmp_eq_u32 s5, 0
	s_waitcnt vmcnt(0)
	v_add_u32_e32 v4, v4, v6
	s_cbranch_scc0 .LBB1_32
.LBB1_33:
	v_mov_b32_e32 v5, 0
	s_waitcnt vmcnt(0)
	global_store_dword v5, v4, s[16:17]
.LBB1_34:
	s_add_i32 s10, s24, 1
	s_mov_b32 s11, 0
	s_lshl_b64 s[10:11], s[10:11], 2
	s_add_u32 s10, s18, s10
	s_addc_u32 s11, s19, s11
	v_mov_b32_e32 v5, 0
	s_waitcnt vmcnt(0)
	global_store_dword v5, v4, s[10:11]
.LBB1_35:
	s_or_b64 exec, exec, s[8:9]
	v_mov_b32_e32 v4, 0
	buffer_wbl2 sc0 sc1
	s_waitcnt vmcnt(0)
	buffer_inv sc0 sc1
	s_barrier
	global_load_dword v4, v4, s[6:7] offset:40
	s_waitcnt vmcnt(0)
	v_readfirstlane_b32 s14, v4
	s_and_saveexec_b64 s[8:9], s[0:1]
	s_cbranch_execz .LBB1_44
; %bb.36:
	s_mov_b64 s[12:13], exec
	v_mbcnt_lo_u32_b32 v4, s12, 0
	v_mbcnt_hi_u32_b32 v4, s13, v4
	v_cmp_eq_u32_e32 vcc, 0, v4
                                        ; implicit-def: $vgpr5
	s_and_saveexec_b64 s[10:11], vcc
	s_cbranch_execz .LBB1_38
; %bb.37:
	s_bcnt1_i32_b64 s5, s[12:13]
	v_mov_b32_e32 v5, 0
	v_mov_b32_e32 v6, s5
	global_atomic_add v5, v5, v6, s[6:7] offset:32 sc0
.LBB1_38:
	s_or_b64 exec, exec, s[10:11]
	s_waitcnt vmcnt(0)
	v_readfirstlane_b32 s5, v5
	s_nop 1
	v_add_u32_e32 v4, s5, v4
	s_add_i32 s5, s14, -1
	v_cmp_eq_u32_sdwa s[12:13], v4, s5 src0_sel:WORD_0 src1_sel:DWORD
	s_and_saveexec_b64 s[10:11], s[12:13]
	s_cbranch_execz .LBB1_41
; %bb.39:
	s_mov_b64 s[12:13], exec
	v_mbcnt_lo_u32_b32 v5, s12, 0
	v_mbcnt_hi_u32_b32 v5, s13, v5
	v_cmp_eq_u32_e32 vcc, 0, v5
	s_and_b64 s[16:17], exec, vcc
	s_mov_b64 exec, s[16:17]
	s_cbranch_execz .LBB1_41
; %bb.40:
	s_sub_i32 s5, 0x10000, s14
	s_bcnt1_i32_b64 s12, s[12:13]
	s_mul_i32 s5, s5, s12
	v_mov_b32_e32 v5, 0
	v_mov_b32_e32 v6, s5
	global_atomic_add v5, v6, s[6:7] offset:32
.LBB1_41:
	s_or_b64 exec, exec, s[10:11]
	v_mov_b32_e32 v5, 0
	global_load_dword v6, v5, s[6:7] offset:32 sc1
	v_and_b32_e32 v4, 0xffff0000, v4
	s_waitcnt vmcnt(0)
	v_and_b32_e32 v6, 0xffff0000, v6
	v_cmp_eq_u32_e32 vcc, v6, v4
	s_and_b64 exec, exec, vcc
	s_cbranch_execz .LBB1_44
; %bb.42:
	s_mov_b64 s[10:11], 0
.LBB1_43:                               ; =>This Inner Loop Header: Depth=1
	s_sleep 1
	global_load_dword v6, v5, s[6:7] offset:32 sc1
	s_waitcnt vmcnt(0)
	v_and_b32_e32 v6, 0xffff0000, v6
	v_cmp_ne_u32_e32 vcc, v6, v4
	s_or_b64 s[10:11], vcc, s[10:11]
	s_andn2_b64 exec, exec, s[10:11]
	s_cbranch_execnz .LBB1_43
.LBB1_44:
	s_or_b64 exec, exec, s[8:9]
	s_or_b32 s3, s3, s4
	s_or_b32 s2, s3, s2
	v_or_b32_e32 v1, s2, v1
	v_or3_b32 v0, v1, v3, v0
	v_cmp_eq_u32_e32 vcc, 0, v0
	s_and_saveexec_b64 s[2:3], vcc
	s_cbranch_execz .LBB1_54
; %bb.45:
	v_mov_b32_e32 v4, 0
	global_load_dwordx2 v[0:1], v4, s[6:7]
	global_load_dword v3, v4, s[6:7] offset:12
	s_mov_b64 s[4:5], exec
	v_mbcnt_lo_u32_b32 v4, s4, 0
	v_mbcnt_hi_u32_b32 v4, s5, v4
	v_cmp_eq_u32_e32 vcc, 0, v4
                                        ; implicit-def: $vgpr5
	s_and_saveexec_b64 s[8:9], vcc
	s_cbranch_execz .LBB1_47
; %bb.46:
	s_bcnt1_i32_b64 s4, s[4:5]
	v_mov_b32_e32 v5, s4
	s_waitcnt vmcnt(1)
	global_atomic_add v5, v[0:1], v5, off sc0 sc1
.LBB1_47:
	s_or_b64 exec, exec, s[8:9]
	s_waitcnt vmcnt(0)
	v_readfirstlane_b32 s4, v5
	v_add_u32_e32 v5, -1, v3
	s_movk_i32 s10, 0xff
	v_add_u32_e32 v4, s4, v4
	v_cmp_ne_u32_sdwa s[4:5], v4, v5 src0_sel:BYTE_0 src1_sel:DWORD
	s_and_saveexec_b64 s[8:9], s[4:5]
	s_xor_b64 s[4:5], exec, s[8:9]
	s_cbranch_execz .LBB1_51
; %bb.48:
	s_mov_b64 s[8:9], 0
.LBB1_49:                               ; =>This Inner Loop Header: Depth=1
	s_sleep 2
	global_load_dword v3, v[0:1], off sc0 sc1
	s_waitcnt vmcnt(0)
	v_xor_b32_e32 v3, v3, v4
	v_cmp_lt_u32_e32 vcc, s10, v3
	s_or_b64 s[8:9], vcc, s[8:9]
	s_andn2_b64 exec, exec, s[8:9]
	s_cbranch_execnz .LBB1_49
; %bb.50:
	s_or_b64 exec, exec, s[8:9]
                                        ; implicit-def: $vgpr3
                                        ; implicit-def: $vgpr0_vgpr1
.LBB1_51:
	s_andn2_saveexec_b64 s[4:5], s[4:5]
	s_cbranch_execz .LBB1_54
; %bb.52:
	s_mov_b64 s[4:5], exec
	v_mbcnt_lo_u32_b32 v4, s4, 0
	v_mbcnt_hi_u32_b32 v4, s5, v4
	v_cmp_eq_u32_e32 vcc, 0, v4
	s_and_b64 s[8:9], exec, vcc
	s_mov_b64 exec, s[8:9]
	s_cbranch_execz .LBB1_54
; %bb.53:
	v_sub_u32_e32 v3, 0x100, v3
	s_bcnt1_i32_b64 s4, s[4:5]
	v_mul_lo_u32 v3, v3, s4
	global_atomic_add v[0:1], v3, off sc1
.LBB1_54:
	s_or_b64 exec, exec, s[2:3]
	s_and_saveexec_b64 s[2:3], s[0:1]
	s_cbranch_execz .LBB1_63
; %bb.55:
	s_mov_b64 s[4:5], exec
	v_mbcnt_lo_u32_b32 v0, s4, 0
	v_mbcnt_hi_u32_b32 v0, s5, v0
	v_cmp_eq_u32_e32 vcc, 0, v0
                                        ; implicit-def: $vgpr1
	s_and_saveexec_b64 s[0:1], vcc
	s_cbranch_execz .LBB1_57
; %bb.56:
	s_bcnt1_i32_b64 s4, s[4:5]
	v_mov_b32_e32 v1, 0
	v_mov_b32_e32 v3, s4
	global_atomic_add v1, v1, v3, s[6:7] offset:32 sc0
.LBB1_57:
	s_or_b64 exec, exec, s[0:1]
	s_waitcnt vmcnt(0)
	v_readfirstlane_b32 s0, v1
	s_nop 1
	v_add_u32_e32 v0, s0, v0
	s_add_i32 s0, s14, -1
	v_cmp_eq_u32_sdwa s[4:5], v0, s0 src0_sel:WORD_0 src1_sel:DWORD
	s_and_saveexec_b64 s[0:1], s[4:5]
	s_cbranch_execz .LBB1_60
; %bb.58:
	s_mov_b64 s[4:5], exec
	v_mbcnt_lo_u32_b32 v1, s4, 0
	v_mbcnt_hi_u32_b32 v1, s5, v1
	v_cmp_eq_u32_e32 vcc, 0, v1
	s_and_b64 s[8:9], exec, vcc
	s_mov_b64 exec, s[8:9]
	s_cbranch_execz .LBB1_60
; %bb.59:
	s_sub_i32 s8, 0x10000, s14
	s_bcnt1_i32_b64 s4, s[4:5]
	s_mul_i32 s4, s8, s4
	v_mov_b32_e32 v1, 0
	v_mov_b32_e32 v3, s4
	global_atomic_add v1, v3, s[6:7] offset:32
.LBB1_60:
	s_or_b64 exec, exec, s[0:1]
	v_mov_b32_e32 v1, 0
	global_load_dword v3, v1, s[6:7] offset:32 sc1
	v_and_b32_e32 v0, 0xffff0000, v0
	s_waitcnt vmcnt(0)
	v_and_b32_e32 v3, 0xffff0000, v3
	v_cmp_eq_u32_e32 vcc, v3, v0
	s_and_b64 exec, exec, vcc
	s_cbranch_execz .LBB1_63
; %bb.61:
	s_mov_b64 s[0:1], 0
.LBB1_62:                               ; =>This Inner Loop Header: Depth=1
	s_sleep 1
	global_load_dword v3, v1, s[6:7] offset:32 sc1
	s_waitcnt vmcnt(0)
	v_and_b32_e32 v3, 0xffff0000, v3
	v_cmp_ne_u32_e32 vcc, v3, v0
	s_or_b64 s[0:1], vcc, s[0:1]
	s_andn2_b64 exec, exec, s[0:1]
	s_cbranch_execnz .LBB1_62
.LBB1_63:
	s_or_b64 exec, exec, s[2:3]
	v_or_b32_e32 v0, s24, v2
	v_cmp_eq_u32_e32 vcc, 0, v0
	s_barrier
	s_and_saveexec_b64 s[0:1], vcc
	s_cbranch_execz .LBB1_73
; %bb.64:
	v_mov_b32_e32 v0, 0
	global_store_dword v0, v0, s[18:19]
	s_load_dword s0, s[6:7], 0xc
	s_waitcnt lgkmcnt(0)
	s_cmp_eq_u32 s0, 0
	s_cbranch_scc1 .LBB1_73
; %bb.65:
	s_add_i32 s0, s0, 1
	s_max_u32 s4, s0, 2
	s_cmp_lt_u32 s0, 5
	s_mov_b32 s0, 1
	s_cbranch_scc1 .LBB1_69
; %bb.66:
	s_add_i32 s2, s4, -1
	s_and_b32 s3, s2, -4
	s_add_u32 s0, s18, 12
	s_addc_u32 s1, s19, 0
	v_mov_b32_e32 v3, 0
	v_mov_b32_e32 v0, 0
	;; [unrolled: 1-line block ×4, first 2 shown]
	s_mov_b32 s5, s3
	v_mov_b32_e32 v4, 0
.LBB1_67:                               ; =>This Inner Loop Header: Depth=1
	global_load_dwordx4 v[6:9], v3, s[0:1] offset:-8
	s_add_u32 s0, s0, 16
	s_addc_u32 s1, s1, 0
	s_add_i32 s5, s5, -4
	s_cmp_lg_u32 s5, 0
	s_waitcnt vmcnt(0)
	v_add_u32_e32 v4, v4, v7
	v_add_u32_e32 v0, v0, v6
	;; [unrolled: 1-line block ×4, first 2 shown]
	s_cbranch_scc1 .LBB1_67
; %bb.68:
	s_or_b32 s0, s3, 1
	v_add_u32_e32 v2, v2, v4
	v_add_u32_e32 v0, v1, v0
	s_cmp_lg_u32 s2, s3
	v_add_u32_e32 v0, v0, v2
	s_cselect_b64 s[2:3], -1, 0
	s_and_b64 vcc, exec, s[2:3]
	s_cbranch_vccnz .LBB1_70
	s_branch .LBB1_72
.LBB1_69:
	s_cbranch_execz .LBB1_72
.LBB1_70:
	s_mov_b32 s1, 0
	s_sub_i32 s2, s4, s0
	s_lshl_b64 s[0:1], s[0:1], 2
	s_add_u32 s0, s18, s0
	s_addc_u32 s1, s19, s1
	v_mov_b32_e32 v1, 0
.LBB1_71:                               ; =>This Inner Loop Header: Depth=1
	global_load_dword v2, v1, s[0:1]
	s_add_i32 s2, s2, -1
	s_add_u32 s0, s0, 4
	s_addc_u32 s1, s1, 0
	s_cmp_lg_u32 s2, 0
	s_waitcnt vmcnt(0)
	v_add_u32_e32 v0, v0, v2
	s_cbranch_scc1 .LBB1_71
.LBB1_72:
	v_mov_b32_e32 v1, 0
	global_store_dword v1, v0, s[18:19]
.LBB1_73:
	s_endpgm
	.section	.rodata,"a",@progbits
	.p2align	6, 0x0
	.amdhsa_kernel _ZL45kernel_cg_multi_grid_group_type_via_base_typePiS_S_S_S_S_
		.amdhsa_group_segment_fixed_size 0
		.amdhsa_private_segment_fixed_size 0
		.amdhsa_kernarg_size 304
		.amdhsa_user_sgpr_count 2
		.amdhsa_user_sgpr_dispatch_ptr 0
		.amdhsa_user_sgpr_queue_ptr 0
		.amdhsa_user_sgpr_kernarg_segment_ptr 1
		.amdhsa_user_sgpr_dispatch_id 0
		.amdhsa_user_sgpr_kernarg_preload_length 0
		.amdhsa_user_sgpr_kernarg_preload_offset 0
		.amdhsa_user_sgpr_private_segment_size 0
		.amdhsa_uses_dynamic_stack 0
		.amdhsa_enable_private_segment 0
		.amdhsa_system_sgpr_workgroup_id_x 1
		.amdhsa_system_sgpr_workgroup_id_y 1
		.amdhsa_system_sgpr_workgroup_id_z 1
		.amdhsa_system_sgpr_workgroup_info 0
		.amdhsa_system_vgpr_workitem_id 2
		.amdhsa_next_free_vgpr 14
		.amdhsa_next_free_sgpr 25
		.amdhsa_accum_offset 16
		.amdhsa_reserve_vcc 1
		.amdhsa_float_round_mode_32 0
		.amdhsa_float_round_mode_16_64 0
		.amdhsa_float_denorm_mode_32 3
		.amdhsa_float_denorm_mode_16_64 3
		.amdhsa_dx10_clamp 1
		.amdhsa_ieee_mode 1
		.amdhsa_fp16_overflow 0
		.amdhsa_tg_split 0
		.amdhsa_exception_fp_ieee_invalid_op 0
		.amdhsa_exception_fp_denorm_src 0
		.amdhsa_exception_fp_ieee_div_zero 0
		.amdhsa_exception_fp_ieee_overflow 0
		.amdhsa_exception_fp_ieee_underflow 0
		.amdhsa_exception_fp_ieee_inexact 0
		.amdhsa_exception_int_div_zero 0
	.end_amdhsa_kernel
	.section	.text._ZL45kernel_cg_multi_grid_group_type_via_base_typePiS_S_S_S_S_,"axG",@progbits,_ZL45kernel_cg_multi_grid_group_type_via_base_typePiS_S_S_S_S_,comdat
.Lfunc_end1:
	.size	_ZL45kernel_cg_multi_grid_group_type_via_base_typePiS_S_S_S_S_, .Lfunc_end1-_ZL45kernel_cg_multi_grid_group_type_via_base_typePiS_S_S_S_S_
                                        ; -- End function
	.set _ZL45kernel_cg_multi_grid_group_type_via_base_typePiS_S_S_S_S_.num_vgpr, 14
	.set _ZL45kernel_cg_multi_grid_group_type_via_base_typePiS_S_S_S_S_.num_agpr, 0
	.set _ZL45kernel_cg_multi_grid_group_type_via_base_typePiS_S_S_S_S_.numbered_sgpr, 25
	.set _ZL45kernel_cg_multi_grid_group_type_via_base_typePiS_S_S_S_S_.num_named_barrier, 0
	.set _ZL45kernel_cg_multi_grid_group_type_via_base_typePiS_S_S_S_S_.private_seg_size, 0
	.set _ZL45kernel_cg_multi_grid_group_type_via_base_typePiS_S_S_S_S_.uses_vcc, 1
	.set _ZL45kernel_cg_multi_grid_group_type_via_base_typePiS_S_S_S_S_.uses_flat_scratch, 0
	.set _ZL45kernel_cg_multi_grid_group_type_via_base_typePiS_S_S_S_S_.has_dyn_sized_stack, 0
	.set _ZL45kernel_cg_multi_grid_group_type_via_base_typePiS_S_S_S_S_.has_recursion, 0
	.set _ZL45kernel_cg_multi_grid_group_type_via_base_typePiS_S_S_S_S_.has_indirect_call, 0
	.section	.AMDGPU.csdata,"",@progbits
; Kernel info:
; codeLenInByte = 2256
; TotalNumSgprs: 31
; NumVgprs: 14
; NumAgprs: 0
; TotalNumVgprs: 14
; ScratchSize: 0
; MemoryBound: 0
; FloatMode: 240
; IeeeMode: 1
; LDSByteSize: 0 bytes/workgroup (compile time only)
; SGPRBlocks: 3
; VGPRBlocks: 1
; NumSGPRsForWavesPerEU: 31
; NumVGPRsForWavesPerEU: 14
; AccumOffset: 16
; Occupancy: 8
; WaveLimiterHint : 1
; COMPUTE_PGM_RSRC2:SCRATCH_EN: 0
; COMPUTE_PGM_RSRC2:USER_SGPR: 2
; COMPUTE_PGM_RSRC2:TRAP_HANDLER: 0
; COMPUTE_PGM_RSRC2:TGID_X_EN: 1
; COMPUTE_PGM_RSRC2:TGID_Y_EN: 1
; COMPUTE_PGM_RSRC2:TGID_Z_EN: 1
; COMPUTE_PGM_RSRC2:TIDIG_COMP_CNT: 2
; COMPUTE_PGM_RSRC3_GFX90A:ACCUM_OFFSET: 3
; COMPUTE_PGM_RSRC3_GFX90A:TG_SPLIT: 0
	.section	.text._ZL46kernel_cg_multi_grid_group_type_via_public_apiPiS_S_S_S_S_,"axG",@progbits,_ZL46kernel_cg_multi_grid_group_type_via_public_apiPiS_S_S_S_S_,comdat
	.globl	_ZL46kernel_cg_multi_grid_group_type_via_public_apiPiS_S_S_S_S_ ; -- Begin function _ZL46kernel_cg_multi_grid_group_type_via_public_apiPiS_S_S_S_S_
	.p2align	8
	.type	_ZL46kernel_cg_multi_grid_group_type_via_public_apiPiS_S_S_S_S_,@function
_ZL46kernel_cg_multi_grid_group_type_via_public_apiPiS_S_S_S_S_: ; @_ZL46kernel_cg_multi_grid_group_type_via_public_apiPiS_S_S_S_S_
; %bb.0:
	s_load_dwordx8 s[8:15], s[0:1], 0x0
	s_load_dwordx2 s[6:7], s[0:1], 0x88
	s_load_dwordx4 s[16:19], s[0:1], 0x20
	s_load_dword s5, s[0:1], 0x3c
	s_add_u32 s0, s0, 48
	s_addc_u32 s1, s1, 0
	s_waitcnt lgkmcnt(0)
	s_load_dword s24, s[6:7], 0x8
	s_load_dwordx4 s[20:23], s[6:7], 0x10
	v_and_b32_e32 v1, 0x3ff, v0
	s_and_b32 s5, s5, 0xffff
	s_waitcnt lgkmcnt(0)
	s_mul_i32 s21, s2, s5
	v_add_u32_e32 v4, s21, v1
	v_ashrrev_i32_e32 v5, 31, v4
	v_lshlrev_b64 v[2:3], 2, v[4:5]
	v_lshl_add_u64 v[6:7], s[10:11], 0, v[2:3]
	v_mov_b32_e32 v8, s22
	global_store_dword v[6:7], v8, off
	v_lshl_add_u64 v[6:7], s[8:9], 0, v[2:3]
	v_mov_b32_e32 v8, s24
	global_store_dword v[6:7], v8, off
	s_load_dword s8, s[0:1], 0x40
	s_load_dword s21, s[0:1], 0x0
	s_waitcnt lgkmcnt(0)
	s_and_b32 s10, s8, 0xffff
	s_sext_i32_i16 s9, s10
	s_cmp_lt_i32 s9, 2
	s_cbranch_scc1 .LBB2_5
; %bb.1:
	s_sext_i32_i16 s8, s8
	s_cmp_lt_i32 s8, 3
	s_cbranch_scc1 .LBB2_6
; %bb.2:
	s_cmp_eq_u32 s10, 3
	v_mov_b64_e32 v[6:7], 0
	s_cbranch_scc0 .LBB2_4
; %bb.3:
	v_mov_b32_e32 v7, 0
	global_load_dword v6, v7, s[0:1] offset:14
	s_load_dword s8, s[0:1], 0x4
	v_bfe_u32 v8, v0, 10, 10
	v_bfe_u32 v9, v0, 20, 10
	s_mul_i32 s11, s21, s5
	s_waitcnt vmcnt(0)
	v_lshrrev_b32_e32 v10, 16, v6
	v_and_b32_e32 v6, 0xffff, v6
	s_waitcnt lgkmcnt(0)
	v_mul_lo_u32 v11, s8, v6
	v_mul_lo_u32 v6, s3, v6
	;; [unrolled: 1-line block ×3, first 2 shown]
	v_add_u32_e32 v6, v6, v8
	v_add_u32_e32 v8, v10, v9
	v_mad_u64_u32 v[8:9], s[8:9], v8, v11, v[6:7]
	v_mov_b32_e32 v6, v4
	v_mad_u64_u32 v[6:7], s[8:9], v8, s11, v[6:7]
.LBB2_4:
	s_cbranch_execz .LBB2_7
	s_branch .LBB2_8
.LBB2_5:
                                        ; implicit-def: $vgpr6_vgpr7
	s_branch .LBB2_9
.LBB2_6:
                                        ; implicit-def: $vgpr6_vgpr7
.LBB2_7:
	s_load_dwordx2 s[8:9], s[0:1], 0xc
	s_mul_i32 s0, s21, s5
	v_bfe_u32 v6, v0, 10, 10
	v_mov_b32_e32 v7, 0
	s_waitcnt lgkmcnt(0)
	s_lshr_b32 s1, s9, 16
	s_lshr_b32 s8, s8, 16
	s_add_i32 s0, s0, s1
	s_mul_i32 s1, s3, s8
	v_add_u32_e32 v8, s1, v6
	v_mov_b32_e32 v6, v4
	v_mad_u64_u32 v[6:7], s[0:1], v8, s0, v[6:7]
.LBB2_8:
	s_cbranch_execnz .LBB2_11
.LBB2_9:
	s_cmp_lg_u32 s10, 1
	v_mov_b64_e32 v[6:7], 0
	s_cbranch_scc1 .LBB2_11
; %bb.10:
	v_mov_b64_e32 v[6:7], v[4:5]
.LBB2_11:
	v_mov_b32_e32 v8, s12
	v_mov_b32_e32 v9, s13
	v_add_u32_e32 v6, s20, v6
	v_lshl_add_u64 v[4:5], v[4:5], 2, v[8:9]
	s_cmp_eq_u64 s[6:7], 0
	global_store_dword v[4:5], v6, off
	s_cbranch_scc1 .LBB2_13
; %bb.12:
	s_load_dword s0, s[6:7], 0xc
	s_waitcnt lgkmcnt(0)
	s_cmp_lg_u32 s0, 0
	s_cselect_b64 s[0:1], -1, 0
	v_cndmask_b32_e64 v4, 0, 1, s[0:1]
	s_branch .LBB2_14
.LBB2_13:
	v_mov_b32_e32 v4, 0
.LBB2_14:
	v_lshl_add_u64 v[6:7], s[14:15], 0, v[2:3]
	global_store_dword v[6:7], v4, off
	v_lshl_add_u64 v[2:3], s[16:17], 0, v[2:3]
	v_mov_b32_e32 v4, 1
	global_store_dword v[2:3], v4, off
	v_bfe_u32 v3, v0, 10, 10
	v_bfe_u32 v0, v0, 20, 10
	v_or3_b32 v2, v1, v3, v0
	v_cmp_eq_u32_e64 s[0:1], 0, v2
	s_barrier
	s_and_saveexec_b64 s[8:9], s[0:1]
	s_cbranch_execz .LBB2_24
; %bb.15:
	v_mov_b32_e32 v5, 0
	buffer_wbl2 sc1
	s_waitcnt vmcnt(0)
	global_load_dword v2, v5, s[6:7] offset:40
	s_mov_b64 s[10:11], exec
	v_mbcnt_lo_u32_b32 v4, s10, 0
	v_mbcnt_hi_u32_b32 v4, s11, v4
	v_cmp_eq_u32_e32 vcc, 0, v4
                                        ; implicit-def: $vgpr6
	s_and_saveexec_b64 s[12:13], vcc
	s_cbranch_execz .LBB2_17
; %bb.16:
	s_bcnt1_i32_b64 s10, s[10:11]
	v_mov_b32_e32 v6, s10
	global_atomic_add v6, v5, v6, s[6:7] offset:32 sc0
.LBB2_17:
	s_or_b64 exec, exec, s[12:13]
	s_waitcnt vmcnt(0)
	v_readfirstlane_b32 s10, v6
	v_add_u32_e32 v5, -1, v2
	s_nop 0
	v_add_u32_e32 v4, s10, v4
	v_cmp_eq_u32_sdwa s[12:13], v4, v5 src0_sel:WORD_0 src1_sel:DWORD
	s_and_saveexec_b64 s[10:11], s[12:13]
	s_cbranch_execz .LBB2_20
; %bb.18:
	s_mov_b64 s[12:13], exec
	v_mbcnt_lo_u32_b32 v5, s12, 0
	v_mbcnt_hi_u32_b32 v5, s13, v5
	v_cmp_eq_u32_e32 vcc, 0, v5
	s_and_b64 s[14:15], exec, vcc
	s_mov_b64 exec, s[14:15]
	s_cbranch_execz .LBB2_20
; %bb.19:
	v_sub_u32_e32 v2, 0x10000, v2
	s_bcnt1_i32_b64 s12, s[12:13]
	v_mul_lo_u32 v2, v2, s12
	v_mov_b32_e32 v5, 0
	global_atomic_add v5, v2, s[6:7] offset:32
.LBB2_20:
	s_or_b64 exec, exec, s[10:11]
	v_mov_b32_e32 v2, 0
	global_load_dword v5, v2, s[6:7] offset:32 sc1
	v_and_b32_e32 v4, 0xffff0000, v4
	s_waitcnt vmcnt(0)
	v_and_b32_e32 v5, 0xffff0000, v5
	v_cmp_eq_u32_e32 vcc, v5, v4
	s_and_b64 exec, exec, vcc
	s_cbranch_execz .LBB2_23
; %bb.21:
	s_mov_b64 s[10:11], 0
.LBB2_22:                               ; =>This Inner Loop Header: Depth=1
	s_sleep 1
	global_load_dword v5, v2, s[6:7] offset:32 sc1
	s_waitcnt vmcnt(0)
	v_and_b32_e32 v5, 0xffff0000, v5
	v_cmp_ne_u32_e32 vcc, v5, v4
	s_or_b64 s[10:11], vcc, s[10:11]
	s_andn2_b64 exec, exec, s[10:11]
	s_cbranch_execnz .LBB2_22
.LBB2_23:
	buffer_inv sc1
.LBB2_24:
	s_or_b64 exec, exec, s[8:9]
	v_or_b32_e32 v2, s2, v1
	v_cmp_eq_u32_e32 vcc, 0, v2
	s_barrier
	s_and_saveexec_b64 s[8:9], vcc
	s_cbranch_execz .LBB2_35
; %bb.25:
	v_mov_b32_e32 v4, 0
	global_load_dword v4, v4, s[16:17]
	s_mul_i32 s5, s21, s5
	s_cmp_lt_u32 s5, 2
	s_cbranch_scc1 .LBB2_34
; %bb.26:
	s_cmp_lt_u32 s5, 5
	s_cbranch_scc1 .LBB2_30
; %bb.27:
	s_add_i32 s12, s5, -1
	s_and_b32 s13, s12, -4
	s_add_u32 s10, s16, 12
	s_addc_u32 s11, s17, 0
	v_mov_b32_e32 v7, 0
	v_mov_b32_e32 v6, 0
	;; [unrolled: 1-line block ×3, first 2 shown]
	s_mov_b32 s14, s13
	v_mov_b32_e32 v8, 0
.LBB2_28:                               ; =>This Inner Loop Header: Depth=1
	global_load_dwordx4 v[10:13], v7, s[10:11] offset:-8
	s_add_u32 s10, s10, 16
	s_addc_u32 s11, s11, 0
	s_add_i32 s14, s14, -4
	s_cmp_lg_u32 s14, 0
	s_waitcnt vmcnt(0)
	v_add_u32_e32 v8, v8, v11
	v_add_u32_e32 v4, v4, v10
	;; [unrolled: 1-line block ×4, first 2 shown]
	s_cbranch_scc1 .LBB2_28
; %bb.29:
	s_or_b32 s10, s13, 1
	v_add_u32_e32 v6, v6, v8
	v_add_u32_e32 v4, v5, v4
	s_cmp_lg_u32 s12, s13
	v_add_u32_e32 v4, v4, v6
	s_cselect_b64 s[12:13], -1, 0
	s_and_b64 vcc, exec, s[12:13]
	s_cbranch_vccnz .LBB2_31
	s_branch .LBB2_33
.LBB2_30:
	s_mov_b32 s10, 1
	s_cbranch_execz .LBB2_33
.LBB2_31:
	s_mov_b32 s11, 0
	s_sub_i32 s5, s5, s10
	s_lshl_b64 s[10:11], s[10:11], 2
	s_add_u32 s10, s16, s10
	s_addc_u32 s11, s17, s11
	v_mov_b32_e32 v5, 0
.LBB2_32:                               ; =>This Inner Loop Header: Depth=1
	global_load_dword v6, v5, s[10:11]
	s_add_i32 s5, s5, -1
	s_add_u32 s10, s10, 4
	s_addc_u32 s11, s11, 0
	s_cmp_eq_u32 s5, 0
	s_waitcnt vmcnt(0)
	v_add_u32_e32 v4, v4, v6
	s_cbranch_scc0 .LBB2_32
.LBB2_33:
	v_mov_b32_e32 v5, 0
	s_waitcnt vmcnt(0)
	global_store_dword v5, v4, s[16:17]
.LBB2_34:
	s_add_i32 s10, s24, 1
	s_mov_b32 s11, 0
	s_lshl_b64 s[10:11], s[10:11], 2
	s_add_u32 s10, s18, s10
	s_addc_u32 s11, s19, s11
	v_mov_b32_e32 v5, 0
	s_waitcnt vmcnt(0)
	global_store_dword v5, v4, s[10:11]
.LBB2_35:
	s_or_b64 exec, exec, s[8:9]
	v_mov_b32_e32 v4, 0
	buffer_wbl2 sc0 sc1
	s_waitcnt vmcnt(0)
	buffer_inv sc0 sc1
	s_barrier
	global_load_dword v4, v4, s[6:7] offset:40
	s_waitcnt vmcnt(0)
	v_readfirstlane_b32 s14, v4
	s_and_saveexec_b64 s[8:9], s[0:1]
	s_cbranch_execz .LBB2_44
; %bb.36:
	s_mov_b64 s[12:13], exec
	v_mbcnt_lo_u32_b32 v4, s12, 0
	v_mbcnt_hi_u32_b32 v4, s13, v4
	v_cmp_eq_u32_e32 vcc, 0, v4
                                        ; implicit-def: $vgpr5
	s_and_saveexec_b64 s[10:11], vcc
	s_cbranch_execz .LBB2_38
; %bb.37:
	s_bcnt1_i32_b64 s5, s[12:13]
	v_mov_b32_e32 v5, 0
	v_mov_b32_e32 v6, s5
	global_atomic_add v5, v5, v6, s[6:7] offset:32 sc0
.LBB2_38:
	s_or_b64 exec, exec, s[10:11]
	s_waitcnt vmcnt(0)
	v_readfirstlane_b32 s5, v5
	s_nop 1
	v_add_u32_e32 v4, s5, v4
	s_add_i32 s5, s14, -1
	v_cmp_eq_u32_sdwa s[12:13], v4, s5 src0_sel:WORD_0 src1_sel:DWORD
	s_and_saveexec_b64 s[10:11], s[12:13]
	s_cbranch_execz .LBB2_41
; %bb.39:
	s_mov_b64 s[12:13], exec
	v_mbcnt_lo_u32_b32 v5, s12, 0
	v_mbcnt_hi_u32_b32 v5, s13, v5
	v_cmp_eq_u32_e32 vcc, 0, v5
	s_and_b64 s[16:17], exec, vcc
	s_mov_b64 exec, s[16:17]
	s_cbranch_execz .LBB2_41
; %bb.40:
	s_sub_i32 s5, 0x10000, s14
	s_bcnt1_i32_b64 s12, s[12:13]
	s_mul_i32 s5, s5, s12
	v_mov_b32_e32 v5, 0
	v_mov_b32_e32 v6, s5
	global_atomic_add v5, v6, s[6:7] offset:32
.LBB2_41:
	s_or_b64 exec, exec, s[10:11]
	v_mov_b32_e32 v5, 0
	global_load_dword v6, v5, s[6:7] offset:32 sc1
	v_and_b32_e32 v4, 0xffff0000, v4
	s_waitcnt vmcnt(0)
	v_and_b32_e32 v6, 0xffff0000, v6
	v_cmp_eq_u32_e32 vcc, v6, v4
	s_and_b64 exec, exec, vcc
	s_cbranch_execz .LBB2_44
; %bb.42:
	s_mov_b64 s[10:11], 0
.LBB2_43:                               ; =>This Inner Loop Header: Depth=1
	s_sleep 1
	global_load_dword v6, v5, s[6:7] offset:32 sc1
	s_waitcnt vmcnt(0)
	v_and_b32_e32 v6, 0xffff0000, v6
	v_cmp_ne_u32_e32 vcc, v6, v4
	s_or_b64 s[10:11], vcc, s[10:11]
	s_andn2_b64 exec, exec, s[10:11]
	s_cbranch_execnz .LBB2_43
.LBB2_44:
	s_or_b64 exec, exec, s[8:9]
	s_or_b32 s3, s3, s4
	s_or_b32 s2, s3, s2
	v_or_b32_e32 v1, s2, v1
	v_or3_b32 v0, v1, v3, v0
	v_cmp_eq_u32_e32 vcc, 0, v0
	s_and_saveexec_b64 s[2:3], vcc
	s_cbranch_execz .LBB2_54
; %bb.45:
	v_mov_b32_e32 v4, 0
	global_load_dwordx2 v[0:1], v4, s[6:7]
	global_load_dword v3, v4, s[6:7] offset:12
	s_mov_b64 s[4:5], exec
	v_mbcnt_lo_u32_b32 v4, s4, 0
	v_mbcnt_hi_u32_b32 v4, s5, v4
	v_cmp_eq_u32_e32 vcc, 0, v4
                                        ; implicit-def: $vgpr5
	s_and_saveexec_b64 s[8:9], vcc
	s_cbranch_execz .LBB2_47
; %bb.46:
	s_bcnt1_i32_b64 s4, s[4:5]
	v_mov_b32_e32 v5, s4
	s_waitcnt vmcnt(1)
	global_atomic_add v5, v[0:1], v5, off sc0 sc1
.LBB2_47:
	s_or_b64 exec, exec, s[8:9]
	s_waitcnt vmcnt(0)
	v_readfirstlane_b32 s4, v5
	v_add_u32_e32 v5, -1, v3
	s_movk_i32 s10, 0xff
	v_add_u32_e32 v4, s4, v4
	v_cmp_ne_u32_sdwa s[4:5], v4, v5 src0_sel:BYTE_0 src1_sel:DWORD
	s_and_saveexec_b64 s[8:9], s[4:5]
	s_xor_b64 s[4:5], exec, s[8:9]
	s_cbranch_execz .LBB2_51
; %bb.48:
	s_mov_b64 s[8:9], 0
.LBB2_49:                               ; =>This Inner Loop Header: Depth=1
	s_sleep 2
	global_load_dword v3, v[0:1], off sc0 sc1
	s_waitcnt vmcnt(0)
	v_xor_b32_e32 v3, v3, v4
	v_cmp_lt_u32_e32 vcc, s10, v3
	s_or_b64 s[8:9], vcc, s[8:9]
	s_andn2_b64 exec, exec, s[8:9]
	s_cbranch_execnz .LBB2_49
; %bb.50:
	s_or_b64 exec, exec, s[8:9]
                                        ; implicit-def: $vgpr3
                                        ; implicit-def: $vgpr0_vgpr1
.LBB2_51:
	s_andn2_saveexec_b64 s[4:5], s[4:5]
	s_cbranch_execz .LBB2_54
; %bb.52:
	s_mov_b64 s[4:5], exec
	v_mbcnt_lo_u32_b32 v4, s4, 0
	v_mbcnt_hi_u32_b32 v4, s5, v4
	v_cmp_eq_u32_e32 vcc, 0, v4
	s_and_b64 s[8:9], exec, vcc
	s_mov_b64 exec, s[8:9]
	s_cbranch_execz .LBB2_54
; %bb.53:
	v_sub_u32_e32 v3, 0x100, v3
	s_bcnt1_i32_b64 s4, s[4:5]
	v_mul_lo_u32 v3, v3, s4
	global_atomic_add v[0:1], v3, off sc1
.LBB2_54:
	s_or_b64 exec, exec, s[2:3]
	s_and_saveexec_b64 s[2:3], s[0:1]
	s_cbranch_execz .LBB2_63
; %bb.55:
	s_mov_b64 s[4:5], exec
	v_mbcnt_lo_u32_b32 v0, s4, 0
	v_mbcnt_hi_u32_b32 v0, s5, v0
	v_cmp_eq_u32_e32 vcc, 0, v0
                                        ; implicit-def: $vgpr1
	s_and_saveexec_b64 s[0:1], vcc
	s_cbranch_execz .LBB2_57
; %bb.56:
	s_bcnt1_i32_b64 s4, s[4:5]
	v_mov_b32_e32 v1, 0
	v_mov_b32_e32 v3, s4
	global_atomic_add v1, v1, v3, s[6:7] offset:32 sc0
.LBB2_57:
	s_or_b64 exec, exec, s[0:1]
	s_waitcnt vmcnt(0)
	v_readfirstlane_b32 s0, v1
	s_nop 1
	v_add_u32_e32 v0, s0, v0
	s_add_i32 s0, s14, -1
	v_cmp_eq_u32_sdwa s[4:5], v0, s0 src0_sel:WORD_0 src1_sel:DWORD
	s_and_saveexec_b64 s[0:1], s[4:5]
	s_cbranch_execz .LBB2_60
; %bb.58:
	s_mov_b64 s[4:5], exec
	v_mbcnt_lo_u32_b32 v1, s4, 0
	v_mbcnt_hi_u32_b32 v1, s5, v1
	v_cmp_eq_u32_e32 vcc, 0, v1
	s_and_b64 s[8:9], exec, vcc
	s_mov_b64 exec, s[8:9]
	s_cbranch_execz .LBB2_60
; %bb.59:
	s_sub_i32 s8, 0x10000, s14
	s_bcnt1_i32_b64 s4, s[4:5]
	s_mul_i32 s4, s8, s4
	v_mov_b32_e32 v1, 0
	v_mov_b32_e32 v3, s4
	global_atomic_add v1, v3, s[6:7] offset:32
.LBB2_60:
	s_or_b64 exec, exec, s[0:1]
	v_mov_b32_e32 v1, 0
	global_load_dword v3, v1, s[6:7] offset:32 sc1
	v_and_b32_e32 v0, 0xffff0000, v0
	s_waitcnt vmcnt(0)
	v_and_b32_e32 v3, 0xffff0000, v3
	v_cmp_eq_u32_e32 vcc, v3, v0
	s_and_b64 exec, exec, vcc
	s_cbranch_execz .LBB2_63
; %bb.61:
	s_mov_b64 s[0:1], 0
.LBB2_62:                               ; =>This Inner Loop Header: Depth=1
	s_sleep 1
	global_load_dword v3, v1, s[6:7] offset:32 sc1
	s_waitcnt vmcnt(0)
	v_and_b32_e32 v3, 0xffff0000, v3
	v_cmp_ne_u32_e32 vcc, v3, v0
	s_or_b64 s[0:1], vcc, s[0:1]
	s_andn2_b64 exec, exec, s[0:1]
	s_cbranch_execnz .LBB2_62
.LBB2_63:
	s_or_b64 exec, exec, s[2:3]
	v_or_b32_e32 v0, s24, v2
	v_cmp_eq_u32_e32 vcc, 0, v0
	s_barrier
	s_and_saveexec_b64 s[0:1], vcc
	s_cbranch_execz .LBB2_73
; %bb.64:
	v_mov_b32_e32 v0, 0
	global_store_dword v0, v0, s[18:19]
	s_load_dword s0, s[6:7], 0xc
	s_waitcnt lgkmcnt(0)
	s_cmp_eq_u32 s0, 0
	s_cbranch_scc1 .LBB2_73
; %bb.65:
	s_add_i32 s0, s0, 1
	s_max_u32 s4, s0, 2
	s_cmp_lt_u32 s0, 5
	s_mov_b32 s0, 1
	s_cbranch_scc1 .LBB2_69
; %bb.66:
	s_add_i32 s2, s4, -1
	s_and_b32 s3, s2, -4
	s_add_u32 s0, s18, 12
	s_addc_u32 s1, s19, 0
	v_mov_b32_e32 v3, 0
	v_mov_b32_e32 v0, 0
	;; [unrolled: 1-line block ×4, first 2 shown]
	s_mov_b32 s5, s3
	v_mov_b32_e32 v4, 0
.LBB2_67:                               ; =>This Inner Loop Header: Depth=1
	global_load_dwordx4 v[6:9], v3, s[0:1] offset:-8
	s_add_u32 s0, s0, 16
	s_addc_u32 s1, s1, 0
	s_add_i32 s5, s5, -4
	s_cmp_lg_u32 s5, 0
	s_waitcnt vmcnt(0)
	v_add_u32_e32 v4, v4, v7
	v_add_u32_e32 v0, v0, v6
	;; [unrolled: 1-line block ×4, first 2 shown]
	s_cbranch_scc1 .LBB2_67
; %bb.68:
	s_or_b32 s0, s3, 1
	v_add_u32_e32 v2, v2, v4
	v_add_u32_e32 v0, v1, v0
	s_cmp_lg_u32 s2, s3
	v_add_u32_e32 v0, v0, v2
	s_cselect_b64 s[2:3], -1, 0
	s_and_b64 vcc, exec, s[2:3]
	s_cbranch_vccnz .LBB2_70
	s_branch .LBB2_72
.LBB2_69:
	s_cbranch_execz .LBB2_72
.LBB2_70:
	s_mov_b32 s1, 0
	s_sub_i32 s2, s4, s0
	s_lshl_b64 s[0:1], s[0:1], 2
	s_add_u32 s0, s18, s0
	s_addc_u32 s1, s19, s1
	v_mov_b32_e32 v1, 0
.LBB2_71:                               ; =>This Inner Loop Header: Depth=1
	global_load_dword v2, v1, s[0:1]
	s_add_i32 s2, s2, -1
	s_add_u32 s0, s0, 4
	s_addc_u32 s1, s1, 0
	s_cmp_lg_u32 s2, 0
	s_waitcnt vmcnt(0)
	v_add_u32_e32 v0, v0, v2
	s_cbranch_scc1 .LBB2_71
.LBB2_72:
	v_mov_b32_e32 v1, 0
	global_store_dword v1, v0, s[18:19]
.LBB2_73:
	s_endpgm
	.section	.rodata,"a",@progbits
	.p2align	6, 0x0
	.amdhsa_kernel _ZL46kernel_cg_multi_grid_group_type_via_public_apiPiS_S_S_S_S_
		.amdhsa_group_segment_fixed_size 0
		.amdhsa_private_segment_fixed_size 0
		.amdhsa_kernarg_size 304
		.amdhsa_user_sgpr_count 2
		.amdhsa_user_sgpr_dispatch_ptr 0
		.amdhsa_user_sgpr_queue_ptr 0
		.amdhsa_user_sgpr_kernarg_segment_ptr 1
		.amdhsa_user_sgpr_dispatch_id 0
		.amdhsa_user_sgpr_kernarg_preload_length 0
		.amdhsa_user_sgpr_kernarg_preload_offset 0
		.amdhsa_user_sgpr_private_segment_size 0
		.amdhsa_uses_dynamic_stack 0
		.amdhsa_enable_private_segment 0
		.amdhsa_system_sgpr_workgroup_id_x 1
		.amdhsa_system_sgpr_workgroup_id_y 1
		.amdhsa_system_sgpr_workgroup_id_z 1
		.amdhsa_system_sgpr_workgroup_info 0
		.amdhsa_system_vgpr_workitem_id 2
		.amdhsa_next_free_vgpr 14
		.amdhsa_next_free_sgpr 25
		.amdhsa_accum_offset 16
		.amdhsa_reserve_vcc 1
		.amdhsa_float_round_mode_32 0
		.amdhsa_float_round_mode_16_64 0
		.amdhsa_float_denorm_mode_32 3
		.amdhsa_float_denorm_mode_16_64 3
		.amdhsa_dx10_clamp 1
		.amdhsa_ieee_mode 1
		.amdhsa_fp16_overflow 0
		.amdhsa_tg_split 0
		.amdhsa_exception_fp_ieee_invalid_op 0
		.amdhsa_exception_fp_denorm_src 0
		.amdhsa_exception_fp_ieee_div_zero 0
		.amdhsa_exception_fp_ieee_overflow 0
		.amdhsa_exception_fp_ieee_underflow 0
		.amdhsa_exception_fp_ieee_inexact 0
		.amdhsa_exception_int_div_zero 0
	.end_amdhsa_kernel
	.section	.text._ZL46kernel_cg_multi_grid_group_type_via_public_apiPiS_S_S_S_S_,"axG",@progbits,_ZL46kernel_cg_multi_grid_group_type_via_public_apiPiS_S_S_S_S_,comdat
.Lfunc_end2:
	.size	_ZL46kernel_cg_multi_grid_group_type_via_public_apiPiS_S_S_S_S_, .Lfunc_end2-_ZL46kernel_cg_multi_grid_group_type_via_public_apiPiS_S_S_S_S_
                                        ; -- End function
	.set _ZL46kernel_cg_multi_grid_group_type_via_public_apiPiS_S_S_S_S_.num_vgpr, 14
	.set _ZL46kernel_cg_multi_grid_group_type_via_public_apiPiS_S_S_S_S_.num_agpr, 0
	.set _ZL46kernel_cg_multi_grid_group_type_via_public_apiPiS_S_S_S_S_.numbered_sgpr, 25
	.set _ZL46kernel_cg_multi_grid_group_type_via_public_apiPiS_S_S_S_S_.num_named_barrier, 0
	.set _ZL46kernel_cg_multi_grid_group_type_via_public_apiPiS_S_S_S_S_.private_seg_size, 0
	.set _ZL46kernel_cg_multi_grid_group_type_via_public_apiPiS_S_S_S_S_.uses_vcc, 1
	.set _ZL46kernel_cg_multi_grid_group_type_via_public_apiPiS_S_S_S_S_.uses_flat_scratch, 0
	.set _ZL46kernel_cg_multi_grid_group_type_via_public_apiPiS_S_S_S_S_.has_dyn_sized_stack, 0
	.set _ZL46kernel_cg_multi_grid_group_type_via_public_apiPiS_S_S_S_S_.has_recursion, 0
	.set _ZL46kernel_cg_multi_grid_group_type_via_public_apiPiS_S_S_S_S_.has_indirect_call, 0
	.section	.AMDGPU.csdata,"",@progbits
; Kernel info:
; codeLenInByte = 2256
; TotalNumSgprs: 31
; NumVgprs: 14
; NumAgprs: 0
; TotalNumVgprs: 14
; ScratchSize: 0
; MemoryBound: 0
; FloatMode: 240
; IeeeMode: 1
; LDSByteSize: 0 bytes/workgroup (compile time only)
; SGPRBlocks: 3
; VGPRBlocks: 1
; NumSGPRsForWavesPerEU: 31
; NumVGPRsForWavesPerEU: 14
; AccumOffset: 16
; Occupancy: 8
; WaveLimiterHint : 1
; COMPUTE_PGM_RSRC2:SCRATCH_EN: 0
; COMPUTE_PGM_RSRC2:USER_SGPR: 2
; COMPUTE_PGM_RSRC2:TRAP_HANDLER: 0
; COMPUTE_PGM_RSRC2:TGID_X_EN: 1
; COMPUTE_PGM_RSRC2:TGID_Y_EN: 1
; COMPUTE_PGM_RSRC2:TGID_Z_EN: 1
; COMPUTE_PGM_RSRC2:TIDIG_COMP_CNT: 2
; COMPUTE_PGM_RSRC3_GFX90A:ACCUM_OFFSET: 3
; COMPUTE_PGM_RSRC3_GFX90A:TG_SPLIT: 0
	.text
	.protected	_Z11test_kernelPjS_jS_S_S_S_ ; -- Begin function _Z11test_kernelPjS_jS_S_S_S_
	.globl	_Z11test_kernelPjS_jS_S_S_S_
	.p2align	8
	.type	_Z11test_kernelPjS_jS_S_S_S_,@function
_Z11test_kernelPjS_jS_S_S_S_:           ; @_Z11test_kernelPjS_jS_S_S_S_
; %bb.0:
	s_load_dword s33, s[0:1], 0x10
	s_mov_b32 s11, 0
	s_waitcnt lgkmcnt(0)
	s_cmp_eq_u32 s33, 0
	s_cbranch_scc1 .LBB3_79
; %bb.1:
	s_load_dwordx2 s[6:7], s[0:1], 0x38
	s_load_dword s10, s[0:1], 0x40
	s_load_dwordx2 s[24:25], s[0:1], 0x90
	s_add_u32 s5, s0, 56
	s_addc_u32 s8, s1, 0
	s_or_b32 s9, s3, s2
	s_or_b32 s30, s9, s4
	s_waitcnt lgkmcnt(0)
	s_mul_i32 s4, s7, s4
	s_add_i32 s3, s4, s3
	s_mul_i32 s3, s3, s6
	s_add_i32 s31, s3, s2
	v_mov_b32_e32 v2, 0
	s_cmp_lt_u32 s2, s6
	global_load_dword v1, v2, s[0:1] offset:70
	s_cselect_b32 s3, 12, 18
	s_add_u32 s4, s5, s3
	s_addc_u32 s5, s8, 0
	global_load_ushort v5, v2, s[4:5]
	s_load_dwordx4 s[20:23], s[0:1], 0x0
	s_load_dwordx8 s[12:19], s[0:1], 0x18
	s_load_dwordx2 s[28:29], s[24:25], 0x8
	s_mul_i32 s7, s7, s10
	s_mul_i32 s37, s7, s6
	s_add_i32 s38, s37, -1
	s_movk_i32 s8, 0x3ff
	s_waitcnt lgkmcnt(0)
	s_mov_b32 s4, s28
	s_ashr_i32 s5, s28, 31
	s_lshl_b64 s[4:5], s[4:5], 2
	s_add_u32 s26, s18, s4
	s_addc_u32 s27, s19, s5
	s_add_i32 s39, s28, 1
	s_add_u32 s14, s14, s4
	s_addc_u32 s15, s15, s5
	s_abs_i32 s10, s29
	v_cvt_f32_u32_e32 v9, s10
	v_lshrrev_b32_e32 v8, 10, v0
	v_bfe_u32 v7, v0, 20, 10
	v_bfe_u32 v4, v0, 10, 10
	v_and_b32_e32 v6, 0x3ff, v0
	v_bitop3_b32 v0, v0, v8, s8 bitop3:0xa8
	v_or_b32_e32 v8, v0, v7
	v_cmp_eq_u32_e64 s[8:9], 0, v8
	v_rcp_iflag_f32_e32 v8, v9
	v_or3_b32 v0, s30, v7, v0
	v_cmp_eq_u32_e64 s[4:5], 0, v0
	s_sub_i32 s30, 0, s10
	v_mul_f32_e32 v0, 0x4f7ffffe, v8
	v_cvt_u32_f32_e32 v0, v0
	s_abs_i32 s29, s39
	s_mul_i32 s40, s28, s33
	s_ashr_i32 s28, s39, 31
	v_readfirstlane_b32 s34, v0
	s_mul_i32 s30, s30, s34
	s_mul_hi_u32 s30, s34, s30
	s_add_i32 s34, s34, s30
	s_mul_hi_u32 s30, s29, s34
	s_mul_i32 s30, s30, s10
	s_sub_i32 s29, s29, s30
	s_sub_i32 s30, s29, s10
	s_cmp_ge_u32 s29, s10
	s_cselect_b32 s29, s30, s29
	s_sub_i32 s30, s29, s10
	s_cmp_ge_u32 s29, s10
	s_cselect_b32 s10, s30, s29
	s_xor_b32 s10, s10, s28
	s_sub_i32 s28, s10, s28
	s_ashr_i32 s29, s28, 31
	s_lshl_b64 s[28:29], s[28:29], 2
	s_add_u32 s18, s18, s28
	s_addc_u32 s19, s19, s29
	v_mov_b32_e32 v3, -1
	s_movk_i32 s3, 0xff
	s_mov_b32 s36, 0
	v_cmp_eq_u32_e64 s[0:1], 0, v6
	s_mov_b32 s10, s11
	s_waitcnt vmcnt(1)
	v_lshrrev_b32_e32 v0, 16, v1
	v_mul_lo_u32 v8, s31, v0
	v_and_b32_e32 v1, 0xffff, v1
	v_mul_lo_u32 v0, s7, v0
	v_add_u32_e32 v7, v8, v7
	v_mul_lo_u32 v8, v0, v1
	s_waitcnt vmcnt(0)
	v_mad_u64_u32 v[0:1], s[28:29], v7, v1, v[4:5]
	v_mul_lo_u32 v4, v8, s6
	v_mad_u64_u32 v[0:1], s[6:7], v0, v5, v[6:7]
	v_mul_lo_u32 v1, v4, v5
	v_add_u32_e32 v1, -1, v1
	v_cmp_eq_u32_e64 s[6:7], v0, v1
	s_branch .LBB3_3
.LBB3_2:                                ;   in Loop: Header=BB3_3 Depth=1
	s_or_b64 exec, exec, s[28:29]
	s_add_i32 s36, s36, s37
	s_add_i32 s10, s10, 1
	s_cmp_eq_u32 s10, s33
	s_barrier
	s_cbranch_scc1 .LBB3_79
.LBB3_3:                                ; =>This Loop Header: Depth=1
                                        ;     Child Loop BB3_5 Depth 2
                                        ;     Child Loop BB3_17 Depth 2
	;; [unrolled: 1-line block ×8, first 2 shown]
	s_and_saveexec_b64 s[28:29], s[6:7]
	s_cbranch_execz .LBB3_7
; %bb.4:                                ;   in Loop: Header=BB3_3 Depth=1
	s_lshl_b64 s[30:31], s[10:11], 2
	s_add_u32 s30, s12, s30
	s_addc_u32 s31, s13, s31
	global_load_dword v0, v2, s[30:31] sc1
	s_waitcnt vmcnt(0)
	v_cmp_le_u32_e32 vcc, s38, v0
	s_cbranch_vccnz .LBB3_6
.LBB3_5:                                ;   Parent Loop BB3_3 Depth=1
                                        ; =>  This Inner Loop Header: Depth=2
	s_sleep 0x7f
	global_load_dword v0, v2, s[30:31] sc1
	s_waitcnt vmcnt(0)
	v_cmp_gt_u32_e32 vcc, s38, v0
	s_cbranch_vccnz .LBB3_5
.LBB3_6:                                ;   in Loop: Header=BB3_3 Depth=1
	s_sleep 0x7f
.LBB3_7:                                ;   in Loop: Header=BB3_3 Depth=1
	s_or_b64 exec, exec, s[28:29]
	s_and_saveexec_b64 s[28:29], s[0:1]
	s_cbranch_execz .LBB3_9
; %bb.8:                                ;   in Loop: Header=BB3_3 Depth=1
	s_add_i32 s30, s36, s2
	s_ashr_i32 s31, s30, 31
	s_lshl_b64 s[30:31], s[30:31], 2
	s_add_u32 s30, s22, s30
	s_addc_u32 s31, s23, s31
	s_lshl_b64 s[34:35], s[10:11], 2
	s_add_u32 s34, s12, s34
	s_addc_u32 s35, s13, s35
	global_atomic_inc v2, v3, s[34:35]
	global_atomic_inc v0, v2, v3, s[20:21] sc0
	s_waitcnt vmcnt(0)
	global_store_dword v2, v0, s[30:31]
.LBB3_9:                                ;   in Loop: Header=BB3_3 Depth=1
	s_or_b64 exec, exec, s[28:29]
	s_barrier
	s_and_saveexec_b64 s[28:29], s[8:9]
	s_cbranch_execz .LBB3_19
; %bb.10:                               ;   in Loop: Header=BB3_3 Depth=1
	buffer_wbl2 sc1
	s_waitcnt vmcnt(0)
	global_load_dword v0, v2, s[24:25] offset:40
	s_mov_b64 s[30:31], exec
	v_mbcnt_lo_u32_b32 v1, s30, 0
	v_mbcnt_hi_u32_b32 v1, s31, v1
	v_cmp_eq_u32_e32 vcc, 0, v1
                                        ; implicit-def: $vgpr4
	s_and_saveexec_b64 s[34:35], vcc
	s_cbranch_execz .LBB3_12
; %bb.11:                               ;   in Loop: Header=BB3_3 Depth=1
	s_bcnt1_i32_b64 s30, s[30:31]
	v_mov_b32_e32 v4, s30
	global_atomic_add v4, v2, v4, s[24:25] offset:32 sc0
.LBB3_12:                               ;   in Loop: Header=BB3_3 Depth=1
	s_or_b64 exec, exec, s[34:35]
	s_waitcnt vmcnt(0)
	v_readfirstlane_b32 s30, v4
	v_add_u32_e32 v4, -1, v0
	s_nop 0
	v_add_u32_e32 v1, s30, v1
	v_cmp_eq_u32_sdwa s[34:35], v1, v4 src0_sel:WORD_0 src1_sel:DWORD
	s_and_saveexec_b64 s[30:31], s[34:35]
	s_cbranch_execz .LBB3_15
; %bb.13:                               ;   in Loop: Header=BB3_3 Depth=1
	s_mov_b64 s[34:35], exec
	v_mbcnt_lo_u32_b32 v4, s34, 0
	v_mbcnt_hi_u32_b32 v4, s35, v4
	v_cmp_eq_u32_e32 vcc, 0, v4
	s_and_b64 s[42:43], exec, vcc
	s_mov_b64 exec, s[42:43]
	s_cbranch_execz .LBB3_15
; %bb.14:                               ;   in Loop: Header=BB3_3 Depth=1
	v_sub_u32_e32 v0, 0x10000, v0
	s_bcnt1_i32_b64 s34, s[34:35]
	v_mul_lo_u32 v0, v0, s34
	global_atomic_add v2, v0, s[24:25] offset:32
.LBB3_15:                               ;   in Loop: Header=BB3_3 Depth=1
	s_or_b64 exec, exec, s[30:31]
	global_load_dword v4, v2, s[24:25] offset:32 sc1
	v_and_b32_e32 v0, 0xffff0000, v1
	s_waitcnt vmcnt(0)
	v_and_b32_e32 v1, 0xffff0000, v4
	v_cmp_eq_u32_e32 vcc, v1, v0
	s_and_b64 exec, exec, vcc
	s_cbranch_execz .LBB3_18
; %bb.16:                               ;   in Loop: Header=BB3_3 Depth=1
	s_mov_b64 s[30:31], 0
.LBB3_17:                               ;   Parent Loop BB3_3 Depth=1
                                        ; =>  This Inner Loop Header: Depth=2
	s_sleep 1
	global_load_dword v1, v2, s[24:25] offset:32 sc1
	s_waitcnt vmcnt(0)
	v_and_b32_e32 v1, 0xffff0000, v1
	v_cmp_ne_u32_e32 vcc, v1, v0
	s_or_b64 s[30:31], vcc, s[30:31]
	s_andn2_b64 exec, exec, s[30:31]
	s_cbranch_execnz .LBB3_17
.LBB3_18:                               ;   in Loop: Header=BB3_3 Depth=1
	buffer_inv sc1
.LBB3_19:                               ;   in Loop: Header=BB3_3 Depth=1
	s_or_b64 exec, exec, s[28:29]
	s_barrier
	s_and_saveexec_b64 s[28:29], s[6:7]
	s_cbranch_execz .LBB3_23
; %bb.20:                               ;   in Loop: Header=BB3_3 Depth=1
	s_mov_b64 s[34:35], exec
	v_mbcnt_lo_u32_b32 v0, s34, 0
	v_mbcnt_hi_u32_b32 v0, s35, v0
	v_cmp_eq_u32_e32 vcc, 0, v0
                                        ; implicit-def: $vgpr1
	s_and_saveexec_b64 s[30:31], vcc
	s_cbranch_execz .LBB3_22
; %bb.21:                               ;   in Loop: Header=BB3_3 Depth=1
	s_bcnt1_i32_b64 s34, s[34:35]
	s_mul_i32 s34, s39, s34
	v_mov_b32_e32 v1, s34
	global_atomic_add v1, v2, v1, s[14:15] sc0
.LBB3_22:                               ;   in Loop: Header=BB3_3 Depth=1
	s_or_b64 exec, exec, s[30:31]
	s_waitcnt vmcnt(0)
	v_readfirstlane_b32 s30, v1
	v_mul_lo_u32 v0, s39, v0
	s_nop 0
	v_add_u32_e32 v0, s30, v0
	global_store_dword v2, v0, s[26:27]
.LBB3_23:                               ;   in Loop: Header=BB3_3 Depth=1
	s_or_b64 exec, exec, s[28:29]
	buffer_wbl2 sc0 sc1
	s_waitcnt vmcnt(0)
	buffer_inv sc0 sc1
	s_barrier
	global_load_dword v0, v2, s[24:25] offset:40
	s_waitcnt vmcnt(0)
	v_readfirstlane_b32 s41, v0
	s_and_saveexec_b64 s[28:29], s[8:9]
	s_cbranch_execz .LBB3_32
; %bb.24:                               ;   in Loop: Header=BB3_3 Depth=1
	s_mov_b64 s[34:35], exec
	v_mbcnt_lo_u32_b32 v0, s34, 0
	v_mbcnt_hi_u32_b32 v0, s35, v0
	v_cmp_eq_u32_e32 vcc, 0, v0
                                        ; implicit-def: $vgpr1
	s_and_saveexec_b64 s[30:31], vcc
	s_cbranch_execz .LBB3_26
; %bb.25:                               ;   in Loop: Header=BB3_3 Depth=1
	s_bcnt1_i32_b64 s34, s[34:35]
	v_mov_b32_e32 v1, s34
	global_atomic_add v1, v2, v1, s[24:25] offset:32 sc0
.LBB3_26:                               ;   in Loop: Header=BB3_3 Depth=1
	s_or_b64 exec, exec, s[30:31]
	s_waitcnt vmcnt(0)
	v_readfirstlane_b32 s30, v1
	s_nop 1
	v_add_u32_e32 v0, s30, v0
	s_add_i32 s30, s41, -1
	v_cmp_eq_u32_sdwa s[34:35], v0, s30 src0_sel:WORD_0 src1_sel:DWORD
	s_and_saveexec_b64 s[30:31], s[34:35]
	s_cbranch_execz .LBB3_29
; %bb.27:                               ;   in Loop: Header=BB3_3 Depth=1
	s_mov_b64 s[34:35], exec
	v_mbcnt_lo_u32_b32 v1, s34, 0
	v_mbcnt_hi_u32_b32 v1, s35, v1
	v_cmp_eq_u32_e32 vcc, 0, v1
	s_and_b64 s[42:43], exec, vcc
	s_mov_b64 exec, s[42:43]
	s_cbranch_execz .LBB3_29
; %bb.28:                               ;   in Loop: Header=BB3_3 Depth=1
	s_sub_i32 s42, 0x10000, s41
	s_bcnt1_i32_b64 s34, s[34:35]
	s_mul_i32 s34, s42, s34
	v_mov_b32_e32 v1, s34
	global_atomic_add v2, v1, s[24:25] offset:32
.LBB3_29:                               ;   in Loop: Header=BB3_3 Depth=1
	s_or_b64 exec, exec, s[30:31]
	global_load_dword v1, v2, s[24:25] offset:32 sc1
	v_and_b32_e32 v0, 0xffff0000, v0
	s_waitcnt vmcnt(0)
	v_and_b32_e32 v1, 0xffff0000, v1
	v_cmp_eq_u32_e32 vcc, v1, v0
	s_and_b64 exec, exec, vcc
	s_cbranch_execz .LBB3_32
; %bb.30:                               ;   in Loop: Header=BB3_3 Depth=1
	s_mov_b64 s[30:31], 0
.LBB3_31:                               ;   Parent Loop BB3_3 Depth=1
                                        ; =>  This Inner Loop Header: Depth=2
	s_sleep 1
	global_load_dword v1, v2, s[24:25] offset:32 sc1
	s_waitcnt vmcnt(0)
	v_and_b32_e32 v1, 0xffff0000, v1
	v_cmp_ne_u32_e32 vcc, v1, v0
	s_or_b64 s[30:31], vcc, s[30:31]
	s_andn2_b64 exec, exec, s[30:31]
	s_cbranch_execnz .LBB3_31
.LBB3_32:                               ;   in Loop: Header=BB3_3 Depth=1
	s_or_b64 exec, exec, s[28:29]
	s_and_saveexec_b64 s[28:29], s[4:5]
	s_cbranch_execz .LBB3_42
; %bb.33:                               ;   in Loop: Header=BB3_3 Depth=1
	global_load_dwordx2 v[0:1], v2, s[24:25]
	global_load_dword v4, v2, s[24:25] offset:12
	s_mov_b64 s[30:31], exec
	v_mbcnt_lo_u32_b32 v5, s30, 0
	v_mbcnt_hi_u32_b32 v5, s31, v5
	v_cmp_eq_u32_e32 vcc, 0, v5
                                        ; implicit-def: $vgpr6
	s_and_saveexec_b64 s[34:35], vcc
	s_cbranch_execz .LBB3_35
; %bb.34:                               ;   in Loop: Header=BB3_3 Depth=1
	s_bcnt1_i32_b64 s30, s[30:31]
	v_mov_b32_e32 v6, s30
	s_waitcnt vmcnt(1)
	global_atomic_add v6, v[0:1], v6, off sc0 sc1
.LBB3_35:                               ;   in Loop: Header=BB3_3 Depth=1
	s_or_b64 exec, exec, s[34:35]
	s_waitcnt vmcnt(0)
	v_readfirstlane_b32 s30, v6
	v_add_u32_e32 v6, -1, v4
	s_nop 0
	v_add_u32_e32 v5, s30, v5
	v_cmp_ne_u32_sdwa s[30:31], v5, v6 src0_sel:BYTE_0 src1_sel:DWORD
	s_and_saveexec_b64 s[34:35], s[30:31]
	s_xor_b64 s[30:31], exec, s[34:35]
	s_cbranch_execz .LBB3_39
; %bb.36:                               ;   in Loop: Header=BB3_3 Depth=1
	s_mov_b64 s[34:35], 0
.LBB3_37:                               ;   Parent Loop BB3_3 Depth=1
                                        ; =>  This Inner Loop Header: Depth=2
	s_sleep 2
	global_load_dword v4, v[0:1], off sc0 sc1
	s_waitcnt vmcnt(0)
	v_xor_b32_e32 v4, v4, v5
	v_cmp_lt_u32_e32 vcc, s3, v4
	s_or_b64 s[34:35], vcc, s[34:35]
	s_andn2_b64 exec, exec, s[34:35]
	s_cbranch_execnz .LBB3_37
; %bb.38:                               ;   in Loop: Header=BB3_3 Depth=1
	s_or_b64 exec, exec, s[34:35]
                                        ; implicit-def: $vgpr4
                                        ; implicit-def: $vgpr0_vgpr1
.LBB3_39:                               ;   in Loop: Header=BB3_3 Depth=1
	s_andn2_saveexec_b64 s[30:31], s[30:31]
	s_cbranch_execz .LBB3_42
; %bb.40:                               ;   in Loop: Header=BB3_3 Depth=1
	s_mov_b64 s[30:31], exec
	v_mbcnt_lo_u32_b32 v5, s30, 0
	v_mbcnt_hi_u32_b32 v5, s31, v5
	v_cmp_eq_u32_e32 vcc, 0, v5
	s_and_b64 s[34:35], exec, vcc
	s_mov_b64 exec, s[34:35]
	s_cbranch_execz .LBB3_42
; %bb.41:                               ;   in Loop: Header=BB3_3 Depth=1
	v_sub_u32_e32 v4, 0x100, v4
	s_bcnt1_i32_b64 s30, s[30:31]
	v_mul_lo_u32 v4, v4, s30
	global_atomic_add v[0:1], v4, off sc1
.LBB3_42:                               ;   in Loop: Header=BB3_3 Depth=1
	s_or_b64 exec, exec, s[28:29]
	s_and_saveexec_b64 s[28:29], s[8:9]
	s_cbranch_execz .LBB3_51
; %bb.43:                               ;   in Loop: Header=BB3_3 Depth=1
	s_mov_b64 s[34:35], exec
	v_mbcnt_lo_u32_b32 v0, s34, 0
	v_mbcnt_hi_u32_b32 v0, s35, v0
	v_cmp_eq_u32_e32 vcc, 0, v0
                                        ; implicit-def: $vgpr1
	s_and_saveexec_b64 s[30:31], vcc
	s_cbranch_execz .LBB3_45
; %bb.44:                               ;   in Loop: Header=BB3_3 Depth=1
	s_bcnt1_i32_b64 s34, s[34:35]
	v_mov_b32_e32 v1, s34
	global_atomic_add v1, v2, v1, s[24:25] offset:32 sc0
.LBB3_45:                               ;   in Loop: Header=BB3_3 Depth=1
	s_or_b64 exec, exec, s[30:31]
	s_waitcnt vmcnt(0)
	v_readfirstlane_b32 s30, v1
	s_nop 1
	v_add_u32_e32 v0, s30, v0
	s_add_i32 s30, s41, -1
	v_cmp_eq_u32_sdwa s[34:35], v0, s30 src0_sel:WORD_0 src1_sel:DWORD
	s_and_saveexec_b64 s[30:31], s[34:35]
	s_cbranch_execz .LBB3_48
; %bb.46:                               ;   in Loop: Header=BB3_3 Depth=1
	s_mov_b64 s[34:35], exec
	v_mbcnt_lo_u32_b32 v1, s34, 0
	v_mbcnt_hi_u32_b32 v1, s35, v1
	v_cmp_eq_u32_e32 vcc, 0, v1
	s_and_b64 s[42:43], exec, vcc
	s_mov_b64 exec, s[42:43]
	s_cbranch_execz .LBB3_48
; %bb.47:                               ;   in Loop: Header=BB3_3 Depth=1
	s_sub_i32 s41, 0x10000, s41
	s_bcnt1_i32_b64 s34, s[34:35]
	s_mul_i32 s34, s41, s34
	v_mov_b32_e32 v1, s34
	global_atomic_add v2, v1, s[24:25] offset:32
.LBB3_48:                               ;   in Loop: Header=BB3_3 Depth=1
	s_or_b64 exec, exec, s[30:31]
	global_load_dword v1, v2, s[24:25] offset:32 sc1
	v_and_b32_e32 v0, 0xffff0000, v0
	s_waitcnt vmcnt(0)
	v_and_b32_e32 v1, 0xffff0000, v1
	v_cmp_eq_u32_e32 vcc, v1, v0
	s_and_b64 exec, exec, vcc
	s_cbranch_execz .LBB3_51
; %bb.49:                               ;   in Loop: Header=BB3_3 Depth=1
	s_mov_b64 s[30:31], 0
.LBB3_50:                               ;   Parent Loop BB3_3 Depth=1
                                        ; =>  This Inner Loop Header: Depth=2
	s_sleep 1
	global_load_dword v1, v2, s[24:25] offset:32 sc1
	s_waitcnt vmcnt(0)
	v_and_b32_e32 v1, 0xffff0000, v1
	v_cmp_ne_u32_e32 vcc, v1, v0
	s_or_b64 s[30:31], vcc, s[30:31]
	s_andn2_b64 exec, exec, s[30:31]
	s_cbranch_execnz .LBB3_50
.LBB3_51:                               ;   in Loop: Header=BB3_3 Depth=1
	s_or_b64 exec, exec, s[28:29]
	s_barrier
	global_load_dword v0, v2, s[18:19]
	s_add_i32 s28, s10, s40
	s_mov_b32 s29, s11
	s_lshl_b64 s[28:29], s[28:29], 2
	s_add_u32 s28, s16, s28
	s_addc_u32 s29, s17, s29
	s_waitcnt vmcnt(0)
	global_store_dword v2, v0, s[28:29]
	buffer_wbl2 sc0 sc1
	s_waitcnt vmcnt(0)
	buffer_inv sc0 sc1
	s_barrier
	global_load_dword v0, v2, s[24:25] offset:40
	s_waitcnt vmcnt(0)
	v_readfirstlane_b32 s41, v0
	s_and_saveexec_b64 s[28:29], s[8:9]
	s_cbranch_execz .LBB3_60
; %bb.52:                               ;   in Loop: Header=BB3_3 Depth=1
	s_mov_b64 s[34:35], exec
	v_mbcnt_lo_u32_b32 v0, s34, 0
	v_mbcnt_hi_u32_b32 v0, s35, v0
	v_cmp_eq_u32_e32 vcc, 0, v0
                                        ; implicit-def: $vgpr1
	s_and_saveexec_b64 s[30:31], vcc
	s_cbranch_execz .LBB3_54
; %bb.53:                               ;   in Loop: Header=BB3_3 Depth=1
	s_bcnt1_i32_b64 s34, s[34:35]
	v_mov_b32_e32 v1, s34
	global_atomic_add v1, v2, v1, s[24:25] offset:32 sc0
.LBB3_54:                               ;   in Loop: Header=BB3_3 Depth=1
	s_or_b64 exec, exec, s[30:31]
	s_waitcnt vmcnt(0)
	v_readfirstlane_b32 s30, v1
	s_nop 1
	v_add_u32_e32 v0, s30, v0
	s_add_i32 s30, s41, -1
	v_cmp_eq_u32_sdwa s[34:35], v0, s30 src0_sel:WORD_0 src1_sel:DWORD
	s_and_saveexec_b64 s[30:31], s[34:35]
	s_cbranch_execz .LBB3_57
; %bb.55:                               ;   in Loop: Header=BB3_3 Depth=1
	s_mov_b64 s[34:35], exec
	v_mbcnt_lo_u32_b32 v1, s34, 0
	v_mbcnt_hi_u32_b32 v1, s35, v1
	v_cmp_eq_u32_e32 vcc, 0, v1
	s_and_b64 s[42:43], exec, vcc
	s_mov_b64 exec, s[42:43]
	s_cbranch_execz .LBB3_57
; %bb.56:                               ;   in Loop: Header=BB3_3 Depth=1
	s_sub_i32 s42, 0x10000, s41
	s_bcnt1_i32_b64 s34, s[34:35]
	s_mul_i32 s34, s42, s34
	v_mov_b32_e32 v1, s34
	global_atomic_add v2, v1, s[24:25] offset:32
.LBB3_57:                               ;   in Loop: Header=BB3_3 Depth=1
	s_or_b64 exec, exec, s[30:31]
	global_load_dword v1, v2, s[24:25] offset:32 sc1
	v_and_b32_e32 v0, 0xffff0000, v0
	s_waitcnt vmcnt(0)
	v_and_b32_e32 v1, 0xffff0000, v1
	v_cmp_eq_u32_e32 vcc, v1, v0
	s_and_b64 exec, exec, vcc
	s_cbranch_execz .LBB3_60
; %bb.58:                               ;   in Loop: Header=BB3_3 Depth=1
	s_mov_b64 s[30:31], 0
.LBB3_59:                               ;   Parent Loop BB3_3 Depth=1
                                        ; =>  This Inner Loop Header: Depth=2
	s_sleep 1
	global_load_dword v1, v2, s[24:25] offset:32 sc1
	s_waitcnt vmcnt(0)
	v_and_b32_e32 v1, 0xffff0000, v1
	v_cmp_ne_u32_e32 vcc, v1, v0
	s_or_b64 s[30:31], vcc, s[30:31]
	s_andn2_b64 exec, exec, s[30:31]
	s_cbranch_execnz .LBB3_59
.LBB3_60:                               ;   in Loop: Header=BB3_3 Depth=1
	s_or_b64 exec, exec, s[28:29]
	s_and_saveexec_b64 s[28:29], s[4:5]
	s_cbranch_execz .LBB3_70
; %bb.61:                               ;   in Loop: Header=BB3_3 Depth=1
	global_load_dwordx2 v[0:1], v2, s[24:25]
	global_load_dword v4, v2, s[24:25] offset:12
	s_mov_b64 s[30:31], exec
	v_mbcnt_lo_u32_b32 v5, s30, 0
	v_mbcnt_hi_u32_b32 v5, s31, v5
	v_cmp_eq_u32_e32 vcc, 0, v5
                                        ; implicit-def: $vgpr6
	s_and_saveexec_b64 s[34:35], vcc
	s_cbranch_execz .LBB3_63
; %bb.62:                               ;   in Loop: Header=BB3_3 Depth=1
	s_bcnt1_i32_b64 s30, s[30:31]
	v_mov_b32_e32 v6, s30
	s_waitcnt vmcnt(1)
	global_atomic_add v6, v[0:1], v6, off sc0 sc1
.LBB3_63:                               ;   in Loop: Header=BB3_3 Depth=1
	s_or_b64 exec, exec, s[34:35]
	s_waitcnt vmcnt(0)
	v_readfirstlane_b32 s30, v6
	v_add_u32_e32 v6, -1, v4
	s_nop 0
	v_add_u32_e32 v5, s30, v5
	v_cmp_ne_u32_sdwa s[30:31], v5, v6 src0_sel:BYTE_0 src1_sel:DWORD
	s_and_saveexec_b64 s[34:35], s[30:31]
	s_xor_b64 s[30:31], exec, s[34:35]
	s_cbranch_execz .LBB3_67
; %bb.64:                               ;   in Loop: Header=BB3_3 Depth=1
	s_mov_b64 s[34:35], 0
.LBB3_65:                               ;   Parent Loop BB3_3 Depth=1
                                        ; =>  This Inner Loop Header: Depth=2
	s_sleep 2
	global_load_dword v4, v[0:1], off sc0 sc1
	s_waitcnt vmcnt(0)
	v_xor_b32_e32 v4, v4, v5
	v_cmp_lt_u32_e32 vcc, s3, v4
	s_or_b64 s[34:35], vcc, s[34:35]
	s_andn2_b64 exec, exec, s[34:35]
	s_cbranch_execnz .LBB3_65
; %bb.66:                               ;   in Loop: Header=BB3_3 Depth=1
	s_or_b64 exec, exec, s[34:35]
                                        ; implicit-def: $vgpr4
                                        ; implicit-def: $vgpr0_vgpr1
.LBB3_67:                               ;   in Loop: Header=BB3_3 Depth=1
	s_andn2_saveexec_b64 s[30:31], s[30:31]
	s_cbranch_execz .LBB3_70
; %bb.68:                               ;   in Loop: Header=BB3_3 Depth=1
	s_mov_b64 s[30:31], exec
	v_mbcnt_lo_u32_b32 v5, s30, 0
	v_mbcnt_hi_u32_b32 v5, s31, v5
	v_cmp_eq_u32_e32 vcc, 0, v5
	s_and_b64 s[34:35], exec, vcc
	s_mov_b64 exec, s[34:35]
	s_cbranch_execz .LBB3_70
; %bb.69:                               ;   in Loop: Header=BB3_3 Depth=1
	v_sub_u32_e32 v4, 0x100, v4
	s_bcnt1_i32_b64 s30, s[30:31]
	v_mul_lo_u32 v4, v4, s30
	global_atomic_add v[0:1], v4, off sc1
.LBB3_70:                               ;   in Loop: Header=BB3_3 Depth=1
	s_or_b64 exec, exec, s[28:29]
	s_and_saveexec_b64 s[28:29], s[8:9]
	s_cbranch_execz .LBB3_2
; %bb.71:                               ;   in Loop: Header=BB3_3 Depth=1
	s_mov_b64 s[34:35], exec
	v_mbcnt_lo_u32_b32 v0, s34, 0
	v_mbcnt_hi_u32_b32 v0, s35, v0
	v_cmp_eq_u32_e32 vcc, 0, v0
                                        ; implicit-def: $vgpr1
	s_and_saveexec_b64 s[30:31], vcc
	s_cbranch_execz .LBB3_73
; %bb.72:                               ;   in Loop: Header=BB3_3 Depth=1
	s_bcnt1_i32_b64 s34, s[34:35]
	v_mov_b32_e32 v1, s34
	global_atomic_add v1, v2, v1, s[24:25] offset:32 sc0
.LBB3_73:                               ;   in Loop: Header=BB3_3 Depth=1
	s_or_b64 exec, exec, s[30:31]
	s_waitcnt vmcnt(0)
	v_readfirstlane_b32 s30, v1
	s_nop 1
	v_add_u32_e32 v0, s30, v0
	s_add_i32 s30, s41, -1
	v_cmp_eq_u32_sdwa s[34:35], v0, s30 src0_sel:WORD_0 src1_sel:DWORD
	s_and_saveexec_b64 s[30:31], s[34:35]
	s_cbranch_execz .LBB3_76
; %bb.74:                               ;   in Loop: Header=BB3_3 Depth=1
	s_mov_b64 s[34:35], exec
	v_mbcnt_lo_u32_b32 v1, s34, 0
	v_mbcnt_hi_u32_b32 v1, s35, v1
	v_cmp_eq_u32_e32 vcc, 0, v1
	s_and_b64 s[42:43], exec, vcc
	s_mov_b64 exec, s[42:43]
	s_cbranch_execz .LBB3_76
; %bb.75:                               ;   in Loop: Header=BB3_3 Depth=1
	s_sub_i32 s41, 0x10000, s41
	s_bcnt1_i32_b64 s34, s[34:35]
	s_mul_i32 s34, s41, s34
	v_mov_b32_e32 v1, s34
	global_atomic_add v2, v1, s[24:25] offset:32
.LBB3_76:                               ;   in Loop: Header=BB3_3 Depth=1
	s_or_b64 exec, exec, s[30:31]
	global_load_dword v1, v2, s[24:25] offset:32 sc1
	v_and_b32_e32 v0, 0xffff0000, v0
	s_waitcnt vmcnt(0)
	v_and_b32_e32 v1, 0xffff0000, v1
	v_cmp_eq_u32_e32 vcc, v1, v0
	s_and_b64 exec, exec, vcc
	s_cbranch_execz .LBB3_2
; %bb.77:                               ;   in Loop: Header=BB3_3 Depth=1
	s_mov_b64 s[30:31], 0
.LBB3_78:                               ;   Parent Loop BB3_3 Depth=1
                                        ; =>  This Inner Loop Header: Depth=2
	s_sleep 1
	global_load_dword v1, v2, s[24:25] offset:32 sc1
	s_waitcnt vmcnt(0)
	v_and_b32_e32 v1, 0xffff0000, v1
	v_cmp_ne_u32_e32 vcc, v1, v0
	s_or_b64 s[30:31], vcc, s[30:31]
	s_andn2_b64 exec, exec, s[30:31]
	s_cbranch_execnz .LBB3_78
	s_branch .LBB3_2
.LBB3_79:
	s_endpgm
	.section	.rodata,"a",@progbits
	.p2align	6, 0x0
	.amdhsa_kernel _Z11test_kernelPjS_jS_S_S_S_
		.amdhsa_group_segment_fixed_size 0
		.amdhsa_private_segment_fixed_size 0
		.amdhsa_kernarg_size 312
		.amdhsa_user_sgpr_count 2
		.amdhsa_user_sgpr_dispatch_ptr 0
		.amdhsa_user_sgpr_queue_ptr 0
		.amdhsa_user_sgpr_kernarg_segment_ptr 1
		.amdhsa_user_sgpr_dispatch_id 0
		.amdhsa_user_sgpr_kernarg_preload_length 0
		.amdhsa_user_sgpr_kernarg_preload_offset 0
		.amdhsa_user_sgpr_private_segment_size 0
		.amdhsa_uses_dynamic_stack 0
		.amdhsa_enable_private_segment 0
		.amdhsa_system_sgpr_workgroup_id_x 1
		.amdhsa_system_sgpr_workgroup_id_y 1
		.amdhsa_system_sgpr_workgroup_id_z 1
		.amdhsa_system_sgpr_workgroup_info 0
		.amdhsa_system_vgpr_workitem_id 2
		.amdhsa_next_free_vgpr 10
		.amdhsa_next_free_sgpr 44
		.amdhsa_accum_offset 12
		.amdhsa_reserve_vcc 1
		.amdhsa_float_round_mode_32 0
		.amdhsa_float_round_mode_16_64 0
		.amdhsa_float_denorm_mode_32 3
		.amdhsa_float_denorm_mode_16_64 3
		.amdhsa_dx10_clamp 1
		.amdhsa_ieee_mode 1
		.amdhsa_fp16_overflow 0
		.amdhsa_tg_split 0
		.amdhsa_exception_fp_ieee_invalid_op 0
		.amdhsa_exception_fp_denorm_src 0
		.amdhsa_exception_fp_ieee_div_zero 0
		.amdhsa_exception_fp_ieee_overflow 0
		.amdhsa_exception_fp_ieee_underflow 0
		.amdhsa_exception_fp_ieee_inexact 0
		.amdhsa_exception_int_div_zero 0
	.end_amdhsa_kernel
	.text
.Lfunc_end3:
	.size	_Z11test_kernelPjS_jS_S_S_S_, .Lfunc_end3-_Z11test_kernelPjS_jS_S_S_S_
                                        ; -- End function
	.set _Z11test_kernelPjS_jS_S_S_S_.num_vgpr, 10
	.set _Z11test_kernelPjS_jS_S_S_S_.num_agpr, 0
	.set _Z11test_kernelPjS_jS_S_S_S_.numbered_sgpr, 44
	.set _Z11test_kernelPjS_jS_S_S_S_.num_named_barrier, 0
	.set _Z11test_kernelPjS_jS_S_S_S_.private_seg_size, 0
	.set _Z11test_kernelPjS_jS_S_S_S_.uses_vcc, 1
	.set _Z11test_kernelPjS_jS_S_S_S_.uses_flat_scratch, 0
	.set _Z11test_kernelPjS_jS_S_S_S_.has_dyn_sized_stack, 0
	.set _Z11test_kernelPjS_jS_S_S_S_.has_recursion, 0
	.set _Z11test_kernelPjS_jS_S_S_S_.has_indirect_call, 0
	.section	.AMDGPU.csdata,"",@progbits
; Kernel info:
; codeLenInByte = 2668
; TotalNumSgprs: 50
; NumVgprs: 10
; NumAgprs: 0
; TotalNumVgprs: 10
; ScratchSize: 0
; MemoryBound: 0
; FloatMode: 240
; IeeeMode: 1
; LDSByteSize: 0 bytes/workgroup (compile time only)
; SGPRBlocks: 6
; VGPRBlocks: 1
; NumSGPRsForWavesPerEU: 50
; NumVGPRsForWavesPerEU: 10
; AccumOffset: 12
; Occupancy: 8
; WaveLimiterHint : 1
; COMPUTE_PGM_RSRC2:SCRATCH_EN: 0
; COMPUTE_PGM_RSRC2:USER_SGPR: 2
; COMPUTE_PGM_RSRC2:TRAP_HANDLER: 0
; COMPUTE_PGM_RSRC2:TGID_X_EN: 1
; COMPUTE_PGM_RSRC2:TGID_Y_EN: 1
; COMPUTE_PGM_RSRC2:TGID_Z_EN: 1
; COMPUTE_PGM_RSRC2:TIDIG_COMP_CNT: 2
; COMPUTE_PGM_RSRC3_GFX90A:ACCUM_OFFSET: 2
; COMPUTE_PGM_RSRC3_GFX90A:TG_SPLIT: 0
	.text
	.p2alignl 6, 3212836864
	.fill 256, 4, 3212836864
	.section	.AMDGPU.gpr_maximums,"",@progbits
	.set amdgpu.max_num_vgpr, 0
	.set amdgpu.max_num_agpr, 0
	.set amdgpu.max_num_sgpr, 0
	.text
	.type	__hip_cuid_de3e246b732da8dd,@object ; @__hip_cuid_de3e246b732da8dd
	.section	.bss,"aw",@nobits
	.globl	__hip_cuid_de3e246b732da8dd
__hip_cuid_de3e246b732da8dd:
	.byte	0                               ; 0x0
	.size	__hip_cuid_de3e246b732da8dd, 1

	.ident	"AMD clang version 22.0.0git (https://github.com/RadeonOpenCompute/llvm-project roc-7.2.4 26084 f58b06dce1f9c15707c5f808fd002e18c2accf7e)"
	.section	".note.GNU-stack","",@progbits
	.addrsig
	.addrsig_sym __hip_cuid_de3e246b732da8dd
	.amdgpu_metadata
---
amdhsa.kernels:
  - .agpr_count:     0
    .args:
      - .address_space:  global
        .offset:         0
        .size:           8
        .value_kind:     global_buffer
      - .address_space:  global
        .offset:         8
        .size:           8
        .value_kind:     global_buffer
      - .address_space:  global
        .offset:         16
        .size:           8
        .value_kind:     global_buffer
      - .address_space:  global
        .offset:         24
        .size:           8
        .value_kind:     global_buffer
      - .address_space:  global
        .offset:         32
        .size:           8
        .value_kind:     global_buffer
      - .address_space:  global
        .offset:         40
        .size:           8
        .value_kind:     global_buffer
      - .address_space:  global
        .offset:         48
        .size:           8
        .value_kind:     global_buffer
      - .offset:         56
        .size:           4
        .value_kind:     hidden_block_count_x
      - .offset:         60
        .size:           4
        .value_kind:     hidden_block_count_y
      - .offset:         64
        .size:           4
        .value_kind:     hidden_block_count_z
      - .offset:         68
        .size:           2
        .value_kind:     hidden_group_size_x
      - .offset:         70
        .size:           2
        .value_kind:     hidden_group_size_y
      - .offset:         72
        .size:           2
        .value_kind:     hidden_group_size_z
      - .offset:         74
        .size:           2
        .value_kind:     hidden_remainder_x
      - .offset:         76
        .size:           2
        .value_kind:     hidden_remainder_y
      - .offset:         78
        .size:           2
        .value_kind:     hidden_remainder_z
      - .offset:         96
        .size:           8
        .value_kind:     hidden_global_offset_x
      - .offset:         104
        .size:           8
        .value_kind:     hidden_global_offset_y
      - .offset:         112
        .size:           8
        .value_kind:     hidden_global_offset_z
      - .offset:         120
        .size:           2
        .value_kind:     hidden_grid_dims
      - .offset:         144
        .size:           8
        .value_kind:     hidden_multigrid_sync_arg
    .group_segment_fixed_size: 0
    .kernarg_segment_align: 8
    .kernarg_segment_size: 312
    .language:       OpenCL C
    .language_version:
      - 2
      - 0
    .max_flat_workgroup_size: 1024
    .name:           _ZL31kernel_cg_multi_grid_group_typePiS_S_S_S_S_S_
    .private_segment_fixed_size: 0
    .sgpr_count:     36
    .sgpr_spill_count: 0
    .symbol:         _ZL31kernel_cg_multi_grid_group_typePiS_S_S_S_S_S_.kd
    .uniform_work_group_size: 1
    .uses_dynamic_stack: false
    .vgpr_count:     14
    .vgpr_spill_count: 0
    .wavefront_size: 64
  - .agpr_count:     0
    .args:
      - .address_space:  global
        .offset:         0
        .size:           8
        .value_kind:     global_buffer
      - .address_space:  global
        .offset:         8
        .size:           8
        .value_kind:     global_buffer
      - .address_space:  global
        .offset:         16
        .size:           8
        .value_kind:     global_buffer
      - .address_space:  global
        .offset:         24
        .size:           8
        .value_kind:     global_buffer
      - .address_space:  global
        .offset:         32
        .size:           8
        .value_kind:     global_buffer
      - .address_space:  global
        .offset:         40
        .size:           8
        .value_kind:     global_buffer
      - .offset:         48
        .size:           4
        .value_kind:     hidden_block_count_x
      - .offset:         52
        .size:           4
        .value_kind:     hidden_block_count_y
      - .offset:         56
        .size:           4
        .value_kind:     hidden_block_count_z
      - .offset:         60
        .size:           2
        .value_kind:     hidden_group_size_x
      - .offset:         62
        .size:           2
        .value_kind:     hidden_group_size_y
      - .offset:         64
        .size:           2
        .value_kind:     hidden_group_size_z
      - .offset:         66
        .size:           2
        .value_kind:     hidden_remainder_x
      - .offset:         68
        .size:           2
        .value_kind:     hidden_remainder_y
      - .offset:         70
        .size:           2
        .value_kind:     hidden_remainder_z
      - .offset:         88
        .size:           8
        .value_kind:     hidden_global_offset_x
      - .offset:         96
        .size:           8
        .value_kind:     hidden_global_offset_y
      - .offset:         104
        .size:           8
        .value_kind:     hidden_global_offset_z
      - .offset:         112
        .size:           2
        .value_kind:     hidden_grid_dims
      - .offset:         136
        .size:           8
        .value_kind:     hidden_multigrid_sync_arg
    .group_segment_fixed_size: 0
    .kernarg_segment_align: 8
    .kernarg_segment_size: 304
    .language:       OpenCL C
    .language_version:
      - 2
      - 0
    .max_flat_workgroup_size: 1024
    .name:           _ZL45kernel_cg_multi_grid_group_type_via_base_typePiS_S_S_S_S_
    .private_segment_fixed_size: 0
    .sgpr_count:     31
    .sgpr_spill_count: 0
    .symbol:         _ZL45kernel_cg_multi_grid_group_type_via_base_typePiS_S_S_S_S_.kd
    .uniform_work_group_size: 1
    .uses_dynamic_stack: false
    .vgpr_count:     14
    .vgpr_spill_count: 0
    .wavefront_size: 64
  - .agpr_count:     0
    .args:
      - .address_space:  global
        .offset:         0
        .size:           8
        .value_kind:     global_buffer
      - .address_space:  global
        .offset:         8
        .size:           8
        .value_kind:     global_buffer
      - .address_space:  global
        .offset:         16
        .size:           8
        .value_kind:     global_buffer
      - .address_space:  global
        .offset:         24
        .size:           8
        .value_kind:     global_buffer
      - .address_space:  global
        .offset:         32
        .size:           8
        .value_kind:     global_buffer
      - .address_space:  global
        .offset:         40
        .size:           8
        .value_kind:     global_buffer
      - .offset:         48
        .size:           4
        .value_kind:     hidden_block_count_x
      - .offset:         52
        .size:           4
        .value_kind:     hidden_block_count_y
      - .offset:         56
        .size:           4
        .value_kind:     hidden_block_count_z
      - .offset:         60
        .size:           2
        .value_kind:     hidden_group_size_x
      - .offset:         62
        .size:           2
        .value_kind:     hidden_group_size_y
      - .offset:         64
        .size:           2
        .value_kind:     hidden_group_size_z
      - .offset:         66
        .size:           2
        .value_kind:     hidden_remainder_x
      - .offset:         68
        .size:           2
        .value_kind:     hidden_remainder_y
      - .offset:         70
        .size:           2
        .value_kind:     hidden_remainder_z
      - .offset:         88
        .size:           8
        .value_kind:     hidden_global_offset_x
      - .offset:         96
        .size:           8
        .value_kind:     hidden_global_offset_y
      - .offset:         104
        .size:           8
        .value_kind:     hidden_global_offset_z
      - .offset:         112
        .size:           2
        .value_kind:     hidden_grid_dims
      - .offset:         136
        .size:           8
        .value_kind:     hidden_multigrid_sync_arg
    .group_segment_fixed_size: 0
    .kernarg_segment_align: 8
    .kernarg_segment_size: 304
    .language:       OpenCL C
    .language_version:
      - 2
      - 0
    .max_flat_workgroup_size: 1024
    .name:           _ZL46kernel_cg_multi_grid_group_type_via_public_apiPiS_S_S_S_S_
    .private_segment_fixed_size: 0
    .sgpr_count:     31
    .sgpr_spill_count: 0
    .symbol:         _ZL46kernel_cg_multi_grid_group_type_via_public_apiPiS_S_S_S_S_.kd
    .uniform_work_group_size: 1
    .uses_dynamic_stack: false
    .vgpr_count:     14
    .vgpr_spill_count: 0
    .wavefront_size: 64
  - .agpr_count:     0
    .args:
      - .address_space:  global
        .offset:         0
        .size:           8
        .value_kind:     global_buffer
      - .address_space:  global
        .offset:         8
        .size:           8
        .value_kind:     global_buffer
      - .offset:         16
        .size:           4
        .value_kind:     by_value
      - .address_space:  global
        .offset:         24
        .size:           8
        .value_kind:     global_buffer
      - .address_space:  global
        .offset:         32
        .size:           8
        .value_kind:     global_buffer
      - .address_space:  global
        .offset:         40
        .size:           8
        .value_kind:     global_buffer
      - .address_space:  global
        .offset:         48
        .size:           8
        .value_kind:     global_buffer
      - .offset:         56
        .size:           4
        .value_kind:     hidden_block_count_x
      - .offset:         60
        .size:           4
        .value_kind:     hidden_block_count_y
      - .offset:         64
        .size:           4
        .value_kind:     hidden_block_count_z
      - .offset:         68
        .size:           2
        .value_kind:     hidden_group_size_x
      - .offset:         70
        .size:           2
        .value_kind:     hidden_group_size_y
      - .offset:         72
        .size:           2
        .value_kind:     hidden_group_size_z
      - .offset:         74
        .size:           2
        .value_kind:     hidden_remainder_x
      - .offset:         76
        .size:           2
        .value_kind:     hidden_remainder_y
      - .offset:         78
        .size:           2
        .value_kind:     hidden_remainder_z
      - .offset:         96
        .size:           8
        .value_kind:     hidden_global_offset_x
      - .offset:         104
        .size:           8
        .value_kind:     hidden_global_offset_y
      - .offset:         112
        .size:           8
        .value_kind:     hidden_global_offset_z
      - .offset:         120
        .size:           2
        .value_kind:     hidden_grid_dims
      - .offset:         144
        .size:           8
        .value_kind:     hidden_multigrid_sync_arg
    .group_segment_fixed_size: 0
    .kernarg_segment_align: 8
    .kernarg_segment_size: 312
    .language:       OpenCL C
    .language_version:
      - 2
      - 0
    .max_flat_workgroup_size: 1024
    .name:           _Z11test_kernelPjS_jS_S_S_S_
    .private_segment_fixed_size: 0
    .sgpr_count:     50
    .sgpr_spill_count: 0
    .symbol:         _Z11test_kernelPjS_jS_S_S_S_.kd
    .uniform_work_group_size: 1
    .uses_dynamic_stack: false
    .vgpr_count:     10
    .vgpr_spill_count: 0
    .wavefront_size: 64
amdhsa.target:   amdgcn-amd-amdhsa--gfx950
amdhsa.version:
  - 1
  - 2
...

	.end_amdgpu_metadata
